;; amdgpu-corpus repo=ROCm/rocFFT kind=compiled arch=gfx1201 opt=O3
	.text
	.amdgcn_target "amdgcn-amd-amdhsa--gfx1201"
	.amdhsa_code_object_version 6
	.protected	fft_rtc_fwd_len1694_factors_11_2_11_7_wgs_154_tpt_154_halfLds_half_ip_CI_sbrr_dirReg ; -- Begin function fft_rtc_fwd_len1694_factors_11_2_11_7_wgs_154_tpt_154_halfLds_half_ip_CI_sbrr_dirReg
	.globl	fft_rtc_fwd_len1694_factors_11_2_11_7_wgs_154_tpt_154_halfLds_half_ip_CI_sbrr_dirReg
	.p2align	8
	.type	fft_rtc_fwd_len1694_factors_11_2_11_7_wgs_154_tpt_154_halfLds_half_ip_CI_sbrr_dirReg,@function
fft_rtc_fwd_len1694_factors_11_2_11_7_wgs_154_tpt_154_halfLds_half_ip_CI_sbrr_dirReg: ; @fft_rtc_fwd_len1694_factors_11_2_11_7_wgs_154_tpt_154_halfLds_half_ip_CI_sbrr_dirReg
; %bb.0:
	s_clause 0x2
	s_load_b64 s[12:13], s[0:1], 0x18
	s_load_b128 s[4:7], s[0:1], 0x0
	s_load_b64 s[10:11], s[0:1], 0x50
	v_mul_u32_u24_e32 v1, 0x1aa, v0
	v_mov_b32_e32 v3, 0
	s_delay_alu instid0(VALU_DEP_2) | instskip(NEXT) | instid1(VALU_DEP_1)
	v_lshrrev_b32_e32 v1, 16, v1
	v_add_nc_u32_e32 v5, ttmp9, v1
	v_mov_b32_e32 v1, 0
	v_mov_b32_e32 v2, 0
	;; [unrolled: 1-line block ×3, first 2 shown]
	s_wait_kmcnt 0x0
	s_load_b64 s[8:9], s[12:13], 0x0
	v_cmp_lt_u64_e64 s2, s[6:7], 2
	s_delay_alu instid0(VALU_DEP_1)
	s_and_b32 vcc_lo, exec_lo, s2
	s_cbranch_vccnz .LBB0_8
; %bb.1:
	s_load_b64 s[2:3], s[0:1], 0x10
	v_mov_b32_e32 v1, 0
	v_mov_b32_e32 v2, 0
	s_add_nc_u64 s[14:15], s[12:13], 8
	s_mov_b64 s[16:17], 1
	s_wait_kmcnt 0x0
	s_add_nc_u64 s[18:19], s[2:3], 8
	s_mov_b32 s3, 0
.LBB0_2:                                ; =>This Inner Loop Header: Depth=1
	s_load_b64 s[20:21], s[18:19], 0x0
                                        ; implicit-def: $vgpr7_vgpr8
	s_mov_b32 s2, exec_lo
	s_wait_kmcnt 0x0
	v_or_b32_e32 v4, s21, v6
	s_delay_alu instid0(VALU_DEP_1)
	v_cmpx_ne_u64_e32 0, v[3:4]
	s_wait_alu 0xfffe
	s_xor_b32 s22, exec_lo, s2
	s_cbranch_execz .LBB0_4
; %bb.3:                                ;   in Loop: Header=BB0_2 Depth=1
	s_cvt_f32_u32 s2, s20
	s_cvt_f32_u32 s23, s21
	s_sub_nc_u64 s[26:27], 0, s[20:21]
	s_wait_alu 0xfffe
	s_delay_alu instid0(SALU_CYCLE_1) | instskip(SKIP_1) | instid1(SALU_CYCLE_2)
	s_fmamk_f32 s2, s23, 0x4f800000, s2
	s_wait_alu 0xfffe
	v_s_rcp_f32 s2, s2
	s_delay_alu instid0(TRANS32_DEP_1) | instskip(SKIP_1) | instid1(SALU_CYCLE_2)
	s_mul_f32 s2, s2, 0x5f7ffffc
	s_wait_alu 0xfffe
	s_mul_f32 s23, s2, 0x2f800000
	s_wait_alu 0xfffe
	s_delay_alu instid0(SALU_CYCLE_2) | instskip(SKIP_1) | instid1(SALU_CYCLE_2)
	s_trunc_f32 s23, s23
	s_wait_alu 0xfffe
	s_fmamk_f32 s2, s23, 0xcf800000, s2
	s_cvt_u32_f32 s25, s23
	s_wait_alu 0xfffe
	s_delay_alu instid0(SALU_CYCLE_1) | instskip(SKIP_1) | instid1(SALU_CYCLE_2)
	s_cvt_u32_f32 s24, s2
	s_wait_alu 0xfffe
	s_mul_u64 s[28:29], s[26:27], s[24:25]
	s_wait_alu 0xfffe
	s_mul_hi_u32 s31, s24, s29
	s_mul_i32 s30, s24, s29
	s_mul_hi_u32 s2, s24, s28
	s_mul_i32 s33, s25, s28
	s_wait_alu 0xfffe
	s_add_nc_u64 s[30:31], s[2:3], s[30:31]
	s_mul_hi_u32 s23, s25, s28
	s_mul_hi_u32 s34, s25, s29
	s_add_co_u32 s2, s30, s33
	s_wait_alu 0xfffe
	s_add_co_ci_u32 s2, s31, s23
	s_mul_i32 s28, s25, s29
	s_add_co_ci_u32 s29, s34, 0
	s_wait_alu 0xfffe
	s_add_nc_u64 s[28:29], s[2:3], s[28:29]
	s_wait_alu 0xfffe
	v_add_co_u32 v4, s2, s24, s28
	s_delay_alu instid0(VALU_DEP_1) | instskip(SKIP_1) | instid1(VALU_DEP_1)
	s_cmp_lg_u32 s2, 0
	s_add_co_ci_u32 s25, s25, s29
	v_readfirstlane_b32 s24, v4
	s_wait_alu 0xfffe
	s_delay_alu instid0(VALU_DEP_1)
	s_mul_u64 s[26:27], s[26:27], s[24:25]
	s_wait_alu 0xfffe
	s_mul_hi_u32 s29, s24, s27
	s_mul_i32 s28, s24, s27
	s_mul_hi_u32 s2, s24, s26
	s_mul_i32 s30, s25, s26
	s_wait_alu 0xfffe
	s_add_nc_u64 s[28:29], s[2:3], s[28:29]
	s_mul_hi_u32 s23, s25, s26
	s_mul_hi_u32 s24, s25, s27
	s_wait_alu 0xfffe
	s_add_co_u32 s2, s28, s30
	s_add_co_ci_u32 s2, s29, s23
	s_mul_i32 s26, s25, s27
	s_add_co_ci_u32 s27, s24, 0
	s_wait_alu 0xfffe
	s_add_nc_u64 s[26:27], s[2:3], s[26:27]
	s_wait_alu 0xfffe
	v_add_co_u32 v4, s2, v4, s26
	s_delay_alu instid0(VALU_DEP_1) | instskip(SKIP_1) | instid1(VALU_DEP_1)
	s_cmp_lg_u32 s2, 0
	s_add_co_ci_u32 s2, s25, s27
	v_mul_hi_u32 v13, v5, v4
	s_wait_alu 0xfffe
	v_mad_co_u64_u32 v[7:8], null, v5, s2, 0
	v_mad_co_u64_u32 v[9:10], null, v6, v4, 0
	;; [unrolled: 1-line block ×3, first 2 shown]
	s_delay_alu instid0(VALU_DEP_3) | instskip(SKIP_1) | instid1(VALU_DEP_4)
	v_add_co_u32 v4, vcc_lo, v13, v7
	s_wait_alu 0xfffd
	v_add_co_ci_u32_e32 v7, vcc_lo, 0, v8, vcc_lo
	s_delay_alu instid0(VALU_DEP_2) | instskip(SKIP_1) | instid1(VALU_DEP_2)
	v_add_co_u32 v4, vcc_lo, v4, v9
	s_wait_alu 0xfffd
	v_add_co_ci_u32_e32 v4, vcc_lo, v7, v10, vcc_lo
	s_wait_alu 0xfffd
	v_add_co_ci_u32_e32 v7, vcc_lo, 0, v12, vcc_lo
	s_delay_alu instid0(VALU_DEP_2) | instskip(SKIP_1) | instid1(VALU_DEP_2)
	v_add_co_u32 v4, vcc_lo, v4, v11
	s_wait_alu 0xfffd
	v_add_co_ci_u32_e32 v9, vcc_lo, 0, v7, vcc_lo
	s_delay_alu instid0(VALU_DEP_2) | instskip(SKIP_1) | instid1(VALU_DEP_3)
	v_mul_lo_u32 v10, s21, v4
	v_mad_co_u64_u32 v[7:8], null, s20, v4, 0
	v_mul_lo_u32 v11, s20, v9
	s_delay_alu instid0(VALU_DEP_2) | instskip(NEXT) | instid1(VALU_DEP_2)
	v_sub_co_u32 v7, vcc_lo, v5, v7
	v_add3_u32 v8, v8, v11, v10
	s_delay_alu instid0(VALU_DEP_1) | instskip(SKIP_1) | instid1(VALU_DEP_1)
	v_sub_nc_u32_e32 v10, v6, v8
	s_wait_alu 0xfffd
	v_subrev_co_ci_u32_e64 v10, s2, s21, v10, vcc_lo
	v_add_co_u32 v11, s2, v4, 2
	s_wait_alu 0xf1ff
	v_add_co_ci_u32_e64 v12, s2, 0, v9, s2
	v_sub_co_u32 v13, s2, v7, s20
	v_sub_co_ci_u32_e32 v8, vcc_lo, v6, v8, vcc_lo
	s_wait_alu 0xf1ff
	v_subrev_co_ci_u32_e64 v10, s2, 0, v10, s2
	s_delay_alu instid0(VALU_DEP_3) | instskip(NEXT) | instid1(VALU_DEP_3)
	v_cmp_le_u32_e32 vcc_lo, s20, v13
	v_cmp_eq_u32_e64 s2, s21, v8
	s_wait_alu 0xfffd
	v_cndmask_b32_e64 v13, 0, -1, vcc_lo
	v_cmp_le_u32_e32 vcc_lo, s21, v10
	s_wait_alu 0xfffd
	v_cndmask_b32_e64 v14, 0, -1, vcc_lo
	v_cmp_le_u32_e32 vcc_lo, s20, v7
	;; [unrolled: 3-line block ×3, first 2 shown]
	s_wait_alu 0xfffd
	v_cndmask_b32_e64 v15, 0, -1, vcc_lo
	v_cmp_eq_u32_e32 vcc_lo, s21, v10
	s_wait_alu 0xf1ff
	s_delay_alu instid0(VALU_DEP_2)
	v_cndmask_b32_e64 v7, v15, v7, s2
	s_wait_alu 0xfffd
	v_cndmask_b32_e32 v10, v14, v13, vcc_lo
	v_add_co_u32 v13, vcc_lo, v4, 1
	s_wait_alu 0xfffd
	v_add_co_ci_u32_e32 v14, vcc_lo, 0, v9, vcc_lo
	s_delay_alu instid0(VALU_DEP_3) | instskip(SKIP_2) | instid1(VALU_DEP_3)
	v_cmp_ne_u32_e32 vcc_lo, 0, v10
	s_wait_alu 0xfffd
	v_cndmask_b32_e32 v10, v13, v11, vcc_lo
	v_cndmask_b32_e32 v8, v14, v12, vcc_lo
	v_cmp_ne_u32_e32 vcc_lo, 0, v7
	s_wait_alu 0xfffd
	s_delay_alu instid0(VALU_DEP_2)
	v_dual_cndmask_b32 v7, v4, v10 :: v_dual_cndmask_b32 v8, v9, v8
.LBB0_4:                                ;   in Loop: Header=BB0_2 Depth=1
	s_wait_alu 0xfffe
	s_and_not1_saveexec_b32 s2, s22
	s_cbranch_execz .LBB0_6
; %bb.5:                                ;   in Loop: Header=BB0_2 Depth=1
	v_cvt_f32_u32_e32 v4, s20
	s_sub_co_i32 s22, 0, s20
	s_delay_alu instid0(VALU_DEP_1) | instskip(NEXT) | instid1(TRANS32_DEP_1)
	v_rcp_iflag_f32_e32 v4, v4
	v_mul_f32_e32 v4, 0x4f7ffffe, v4
	s_delay_alu instid0(VALU_DEP_1) | instskip(SKIP_1) | instid1(VALU_DEP_1)
	v_cvt_u32_f32_e32 v4, v4
	s_wait_alu 0xfffe
	v_mul_lo_u32 v7, s22, v4
	s_delay_alu instid0(VALU_DEP_1) | instskip(NEXT) | instid1(VALU_DEP_1)
	v_mul_hi_u32 v7, v4, v7
	v_add_nc_u32_e32 v4, v4, v7
	s_delay_alu instid0(VALU_DEP_1) | instskip(NEXT) | instid1(VALU_DEP_1)
	v_mul_hi_u32 v4, v5, v4
	v_mul_lo_u32 v7, v4, s20
	v_add_nc_u32_e32 v8, 1, v4
	s_delay_alu instid0(VALU_DEP_2) | instskip(NEXT) | instid1(VALU_DEP_1)
	v_sub_nc_u32_e32 v7, v5, v7
	v_subrev_nc_u32_e32 v9, s20, v7
	v_cmp_le_u32_e32 vcc_lo, s20, v7
	s_wait_alu 0xfffd
	s_delay_alu instid0(VALU_DEP_2) | instskip(NEXT) | instid1(VALU_DEP_1)
	v_dual_cndmask_b32 v7, v7, v9 :: v_dual_cndmask_b32 v4, v4, v8
	v_cmp_le_u32_e32 vcc_lo, s20, v7
	s_delay_alu instid0(VALU_DEP_2) | instskip(SKIP_1) | instid1(VALU_DEP_1)
	v_add_nc_u32_e32 v8, 1, v4
	s_wait_alu 0xfffd
	v_dual_cndmask_b32 v7, v4, v8 :: v_dual_mov_b32 v8, v3
.LBB0_6:                                ;   in Loop: Header=BB0_2 Depth=1
	s_wait_alu 0xfffe
	s_or_b32 exec_lo, exec_lo, s2
	s_load_b64 s[22:23], s[14:15], 0x0
	s_delay_alu instid0(VALU_DEP_1)
	v_mul_lo_u32 v4, v8, s20
	v_mul_lo_u32 v11, v7, s21
	v_mad_co_u64_u32 v[9:10], null, v7, s20, 0
	s_add_nc_u64 s[16:17], s[16:17], 1
	s_add_nc_u64 s[14:15], s[14:15], 8
	s_wait_alu 0xfffe
	v_cmp_ge_u64_e64 s2, s[16:17], s[6:7]
	s_add_nc_u64 s[18:19], s[18:19], 8
	s_delay_alu instid0(VALU_DEP_2) | instskip(NEXT) | instid1(VALU_DEP_3)
	v_add3_u32 v4, v10, v11, v4
	v_sub_co_u32 v5, vcc_lo, v5, v9
	s_wait_alu 0xfffd
	s_delay_alu instid0(VALU_DEP_2) | instskip(SKIP_3) | instid1(VALU_DEP_2)
	v_sub_co_ci_u32_e32 v4, vcc_lo, v6, v4, vcc_lo
	s_and_b32 vcc_lo, exec_lo, s2
	s_wait_kmcnt 0x0
	v_mul_lo_u32 v6, s23, v5
	v_mul_lo_u32 v4, s22, v4
	v_mad_co_u64_u32 v[1:2], null, s22, v5, v[1:2]
	s_delay_alu instid0(VALU_DEP_1)
	v_add3_u32 v2, v6, v2, v4
	s_wait_alu 0xfffe
	s_cbranch_vccnz .LBB0_9
; %bb.7:                                ;   in Loop: Header=BB0_2 Depth=1
	v_dual_mov_b32 v5, v7 :: v_dual_mov_b32 v6, v8
	s_branch .LBB0_2
.LBB0_8:
	v_dual_mov_b32 v8, v6 :: v_dual_mov_b32 v7, v5
.LBB0_9:
	s_lshl_b64 s[2:3], s[6:7], 3
	v_mul_hi_u32 v3, 0x1a98ef7, v0
	s_wait_alu 0xfffe
	s_add_nc_u64 s[2:3], s[12:13], s[2:3]
	s_load_b64 s[0:1], s[0:1], 0x20
	s_load_b64 s[2:3], s[2:3], 0x0
	s_delay_alu instid0(VALU_DEP_1) | instskip(NEXT) | instid1(VALU_DEP_1)
	v_mul_u32_u24_e32 v3, 0x9a, v3
	v_sub_nc_u32_e32 v3, v0, v3
	s_delay_alu instid0(VALU_DEP_1)
	v_add_nc_u32_e32 v4, 0x134, v3
	v_add_nc_u32_e32 v9, 0x1ce, v3
	;; [unrolled: 1-line block ×3, first 2 shown]
	s_wait_kmcnt 0x0
	v_cmp_gt_u64_e32 vcc_lo, s[0:1], v[7:8]
	v_mul_lo_u32 v6, s2, v8
	v_mul_lo_u32 v10, s3, v7
	v_mad_co_u64_u32 v[0:1], null, s2, v7, v[1:2]
	v_cmp_le_u64_e64 s0, s[0:1], v[7:8]
	v_add_nc_u32_e32 v8, 0x302, v3
                                        ; implicit-def: $sgpr2
                                        ; implicit-def: $vgpr2
	s_delay_alu instid0(VALU_DEP_3) | instskip(NEXT) | instid1(VALU_DEP_3)
	v_add3_u32 v1, v10, v1, v6
	s_and_saveexec_b32 s1, s0
	s_wait_alu 0xfffe
	s_xor_b32 s0, exec_lo, s1
; %bb.10:
	v_add_nc_u32_e32 v2, 0x9a, v3
	v_add_nc_u32_e32 v4, 0x134, v3
	;; [unrolled: 1-line block ×5, first 2 shown]
	s_mov_b32 s2, 0
; %bb.11:
	s_wait_alu 0xfffe
	s_or_saveexec_b32 s1, s0
	v_lshlrev_b64_e32 v[0:1], 2, v[0:1]
	v_mov_b32_e32 v14, s2
                                        ; implicit-def: $vgpr44
                                        ; implicit-def: $vgpr43
                                        ; implicit-def: $vgpr40
                                        ; implicit-def: $vgpr41
                                        ; implicit-def: $vgpr38
                                        ; implicit-def: $vgpr39
                                        ; implicit-def: $vgpr37
                                        ; implicit-def: $vgpr36
                                        ; implicit-def: $vgpr29
                                        ; implicit-def: $vgpr27
                                        ; implicit-def: $vgpr30
                                        ; implicit-def: $vgpr28
                                        ; implicit-def: $vgpr34
                                        ; implicit-def: $vgpr42
                                        ; implicit-def: $vgpr33
                                        ; implicit-def: $vgpr45
                                        ; implicit-def: $vgpr32
                                        ; implicit-def: $vgpr46
                                        ; implicit-def: $vgpr31
                                        ; implicit-def: $vgpr47
	s_wait_alu 0xfffe
	s_xor_b32 exec_lo, exec_lo, s1
	s_cbranch_execz .LBB0_13
; %bb.12:
	v_mad_co_u64_u32 v[6:7], null, s8, v3, 0
	v_mad_co_u64_u32 v[12:13], null, s8, v4, 0
	;; [unrolled: 1-line block ×3, first 2 shown]
	v_add_co_u32 v34, s0, s10, v0
	s_delay_alu instid0(VALU_DEP_4) | instskip(SKIP_4) | instid1(VALU_DEP_4)
	v_mad_co_u64_u32 v[16:17], null, s9, v3, v[7:8]
	v_add_nc_u32_e32 v2, 0x9a, v3
	s_wait_alu 0xf1ff
	v_add_co_ci_u32_e64 v35, s0, s11, v1, s0
	v_add_nc_u32_e32 v36, 0x56a, v3
	v_dual_mov_b32 v7, v16 :: v_dual_add_nc_u32 v26, 0x39c, v3
	v_mad_co_u64_u32 v[10:11], null, s8, v2, 0
	s_delay_alu instid0(VALU_DEP_2) | instskip(NEXT) | instid1(VALU_DEP_2)
	v_lshlrev_b64_e32 v[6:7], 2, v[6:7]
	v_mad_co_u64_u32 v[17:18], null, s9, v2, v[11:12]
	v_mad_co_u64_u32 v[18:19], null, s9, v4, v[13:14]
	;; [unrolled: 1-line block ×3, first 2 shown]
	v_mov_b32_e32 v13, v15
	v_add_co_u32 v6, s0, v34, v6
	v_mov_b32_e32 v11, v17
	s_wait_alu 0xf1ff
	v_add_co_ci_u32_e64 v7, s0, v35, v7, s0
	v_mad_co_u64_u32 v[15:16], null, s9, v9, v[13:14]
	v_mov_b32_e32 v13, v18
	v_mad_co_u64_u32 v[17:18], null, s8, v8, 0
	v_mov_b32_e32 v16, v20
	s_delay_alu instid0(VALU_DEP_3) | instskip(SKIP_1) | instid1(VALU_DEP_3)
	v_lshlrev_b64_e32 v[12:13], 2, v[12:13]
	v_lshlrev_b64_e32 v[14:15], 2, v[14:15]
	v_mad_co_u64_u32 v[20:21], null, s9, v5, v[16:17]
	v_mov_b32_e32 v16, v18
	v_lshlrev_b64_e32 v[10:11], 2, v[10:11]
	s_delay_alu instid0(VALU_DEP_2) | instskip(SKIP_2) | instid1(VALU_DEP_4)
	v_mad_co_u64_u32 v[21:22], null, s9, v8, v[16:17]
	v_mad_co_u64_u32 v[22:23], null, s8, v26, 0
	v_add_nc_u32_e32 v29, 0x436, v3
	v_add_co_u32 v10, s0, v34, v10
	s_wait_alu 0xf1ff
	v_add_co_ci_u32_e64 v11, s0, v35, v11, s0
	v_mov_b32_e32 v18, v21
	v_dual_mov_b32 v16, v23 :: v_dual_add_nc_u32 v21, 0x4d0, v3
	v_mad_co_u64_u32 v[24:25], null, s8, v29, 0
	v_add_co_u32 v12, s0, v34, v12
	s_delay_alu instid0(VALU_DEP_3) | instskip(NEXT) | instid1(VALU_DEP_4)
	v_mad_co_u64_u32 v[26:27], null, s9, v26, v[16:17]
	v_mad_co_u64_u32 v[27:28], null, s8, v21, 0
	v_lshlrev_b64_e32 v[17:18], 2, v[17:18]
	v_mov_b32_e32 v16, v25
	v_lshlrev_b64_e32 v[19:20], 2, v[19:20]
	s_wait_alu 0xf1ff
	v_add_co_ci_u32_e64 v13, s0, v35, v13, s0
	v_mov_b32_e32 v23, v26
	v_mad_co_u64_u32 v[25:26], null, s9, v29, v[16:17]
	v_mov_b32_e32 v16, v28
	v_add_co_u32 v14, s0, v34, v14
	v_add_nc_u32_e32 v26, 0x604, v3
	v_mad_co_u64_u32 v[29:30], null, s8, v36, 0
	s_wait_alu 0xf1ff
	v_add_co_ci_u32_e64 v15, s0, v35, v15, s0
	v_add_co_u32 v19, s0, v34, v19
	v_mad_co_u64_u32 v[31:32], null, s9, v21, v[16:17]
	s_wait_alu 0xf1ff
	v_add_co_ci_u32_e64 v20, s0, v35, v20, s0
	v_mad_co_u64_u32 v[32:33], null, s8, v26, 0
	v_add_co_u32 v16, s0, v34, v17
	s_wait_alu 0xf1ff
	v_add_co_ci_u32_e64 v17, s0, v35, v18, s0
	v_mov_b32_e32 v18, v30
	v_mov_b32_e32 v28, v31
	v_lshlrev_b64_e32 v[21:22], 2, v[22:23]
	v_lshlrev_b64_e32 v[23:24], 2, v[24:25]
	s_delay_alu instid0(VALU_DEP_4) | instskip(SKIP_1) | instid1(VALU_DEP_4)
	v_mad_co_u64_u32 v[30:31], null, s9, v36, v[18:19]
	v_mov_b32_e32 v18, v33
	v_add_co_u32 v21, s0, v34, v21
	s_wait_alu 0xf1ff
	v_add_co_ci_u32_e64 v22, s0, v35, v22, s0
	s_delay_alu instid0(VALU_DEP_3)
	v_mad_co_u64_u32 v[25:26], null, s9, v26, v[18:19]
	v_lshlrev_b64_e32 v[26:27], 2, v[27:28]
	v_add_co_u32 v23, s0, v34, v23
	v_lshlrev_b64_e32 v[28:29], 2, v[29:30]
	s_wait_alu 0xf1ff
	v_add_co_ci_u32_e64 v24, s0, v35, v24, s0
	v_mov_b32_e32 v33, v25
	v_add_co_u32 v25, s0, v34, v26
	s_wait_alu 0xf1ff
	v_add_co_ci_u32_e64 v26, s0, v35, v27, s0
	s_delay_alu instid0(VALU_DEP_3) | instskip(SKIP_3) | instid1(VALU_DEP_3)
	v_lshlrev_b64_e32 v[30:31], 2, v[32:33]
	v_add_co_u32 v32, s0, v34, v28
	s_wait_alu 0xf1ff
	v_add_co_ci_u32_e64 v33, s0, v35, v29, s0
	v_add_co_u32 v29, s0, v34, v30
	s_wait_alu 0xf1ff
	v_add_co_ci_u32_e64 v30, s0, v35, v31, s0
	s_clause 0xa
	global_load_b32 v43, v[10:11], off
	global_load_b32 v41, v[12:13], off
	;; [unrolled: 1-line block ×11, first 2 shown]
	s_wait_loadcnt 0xa
	v_lshrrev_b32_e32 v44, 16, v43
	s_wait_loadcnt 0x9
	v_lshrrev_b32_e32 v40, 16, v41
	;; [unrolled: 2-line block ×10, first 2 shown]
.LBB0_13:
	s_or_b32 exec_lo, exec_lo, s1
	s_delay_alu instid0(VALU_DEP_1)
	v_sub_f16_e32 v10, v44, v31
	v_add_f16_e32 v7, v43, v47
	v_sub_f16_e32 v12, v40, v32
	v_add_f16_e32 v11, v41, v46
	v_sub_f16_e32 v15, v38, v33
	v_mul_f16_e32 v21, 0xb482, v10
	v_add_f16_e32 v13, v39, v45
	v_mul_f16_e32 v23, 0x3853, v12
	v_sub_f16_e32 v17, v37, v34
	v_mul_f16_e32 v25, 0xba0c, v15
	v_fma_f16 v35, v7, 0xbbad, -v21
	v_add_f16_e32 v16, v36, v42
	v_fma_f16 v51, v11, 0x3abb, -v23
	v_mul_f16_e32 v48, 0x3b47, v17
	v_pk_mul_f16 v50, 0xbb47b853, v10 op_sel_hi:[1,0]
	s_wait_loadcnt 0x0
	v_add_f16_e32 v35, v35, v14
	v_fma_f16 v53, v13, 0xb93d, -v25
	v_add_f16_e32 v6, v43, v14
	v_pk_mul_f16 v52, 0xba0cbb47, v12 op_sel_hi:[1,0]
	v_fma_f16 v54, v16, 0x36a6, -v48
	v_add_f16_e32 v35, v51, v35
	v_fmamk_f16 v55, v7, 0x3abb, v50
	v_pk_fma_f16 v50, 0x36a63abb, v7, v50 op_sel_hi:[1,0,1] neg_lo:[0,0,1] neg_hi:[0,0,1]
	v_add_f16_e32 v6, v41, v6
	v_pk_mul_f16 v57, 0xba0cbbeb, v10 op_sel_hi:[1,0]
	v_add_f16_e32 v35, v53, v35
	v_fmamk_f16 v53, v11, 0x36a6, v52
	v_pk_fma_f16 v52, 0xb93d36a6, v11, v52 op_sel_hi:[1,0,1] neg_lo:[0,0,1] neg_hi:[0,0,1]
	v_add_f16_e32 v55, v55, v14
	v_pk_add_f16 v50, v50, v14 op_sel_hi:[1,0]
	v_add_f16_e32 v35, v54, v35
	v_pk_mul_f16 v54, 0x3482bbeb, v15 op_sel_hi:[1,0]
	v_add_f16_e32 v6, v39, v6
	v_add_f16_e32 v53, v53, v55
	v_pk_add_f16 v50, v52, v50
	v_pk_mul_f16 v55, 0x3bebba0c, v17 op_sel_hi:[1,0]
	v_fmamk_f16 v52, v13, 0xb08e, v54
	v_pk_fma_f16 v54, 0xbbadb08e, v13, v54 op_sel_hi:[1,0,1] neg_lo:[0,0,1] neg_hi:[0,0,1]
	v_mul_f16_e32 v20, 0xbbad, v7
	v_add_f16_e32 v6, v36, v6
	v_pk_mul_f16 v58, 0x3beb3482, v12 op_sel_hi:[1,0]
	v_add_f16_e32 v52, v52, v53
	v_fmamk_f16 v53, v16, 0xb93d, v55
	v_pk_add_f16 v50, v54, v50
	v_pk_fma_f16 v54, 0xb08eb93d, v16, v55 op_sel_hi:[1,0,1] neg_lo:[0,0,1] neg_hi:[0,0,1]
	v_pk_fma_f16 v55, 0xb93db08e, v7, v57 op_sel_hi:[1,0,1] neg_lo:[0,0,1] neg_hi:[0,0,1]
	v_pk_mul_f16 v61, 0xb93db08e, v7 op_sel_hi:[1,0]
	v_mul_f16_e32 v22, 0x3abb, v11
	v_add_f16_e32 v6, v27, v6
	v_pk_add_f16 v50, v54, v50
	v_pk_add_f16 v54, v55, v14 op_sel_hi:[1,0]
	v_pk_fma_f16 v55, 0xb08ebbad, v11, v58 op_sel_hi:[1,0,1] neg_lo:[0,0,1] neg_hi:[0,0,1]
	v_pk_mul_f16 v59, 0xb8533b47, v15 op_sel_hi:[1,0]
	v_bfi_b32 v21, 0xffff, v21, v57
	v_bfi_b32 v20, 0xffff, v20, v61
	v_pk_mul_f16 v57, 0xb08ebbad, v11 op_sel_hi:[1,0]
	v_pk_mul_f16 v7, 0x36a6b08e, v7 op_sel_hi:[1,0]
	v_mul_f16_e32 v24, 0xb93d, v13
	v_add_f16_e32 v6, v28, v6
	v_pk_add_f16 v54, v55, v54
	v_pk_fma_f16 v55, 0x3abb36a6, v13, v59 op_sel_hi:[1,0,1] neg_lo:[0,0,1] neg_hi:[0,0,1]
	v_pk_mul_f16 v62, 0xb482b853, v17 op_sel_hi:[1,0]
	v_pk_mul_f16 v61, 0x3abb36a6, v13 op_sel_hi:[1,0]
	v_pk_add_f16 v20, v21, v20
	v_bfi_b32 v21, 0xffff, v23, v58
	v_bfi_b32 v22, 0xffff, v22, v57
	v_pk_fma_f16 v7, 0xbb47bbeb, v10, v7 op_sel_hi:[1,0,1]
	v_pk_mul_f16 v10, 0xb93dbbad, v11 op_sel_hi:[1,0]
	v_add_f16_e32 v18, v27, v28
	v_sub_f16_e32 v19, v29, v30
	v_mul_f16_e32 v26, 0x36a6, v16
	v_add_f16_e32 v6, v42, v6
	v_pk_add_f16 v54, v55, v54
	v_pk_fma_f16 v55, 0xbbad3abb, v16, v62 op_sel_hi:[1,0,1] neg_lo:[0,0,1] neg_hi:[0,0,1]
	v_pk_mul_f16 v23, 0xbbad3abb, v16 op_sel_hi:[1,0]
	v_pk_add_f16 v20, v20, v14 op_sel_hi:[1,0]
	v_pk_add_f16 v21, v21, v22
	v_bfi_b32 v22, 0xffff, v25, v59
	v_bfi_b32 v24, 0xffff, v24, v61
	v_pk_add_f16 v7, v7, v14 op_sel_hi:[1,0]
	v_pk_fma_f16 v10, 0xba0c3482, v12, v10 op_sel_hi:[1,0,1]
	v_pk_mul_f16 v12, 0xbbad36a6, v13 op_sel_hi:[1,0]
	v_mul_f16_e32 v49, 0xbbeb, v19
	v_add_f16_e32 v6, v45, v6
	v_mul_f16_e32 v56, 0xb08e, v18
	v_add_f16_e32 v52, v53, v52
	v_pk_mul_f16 v53, 0x3853b482, v19 op_sel_hi:[1,0]
	v_pk_add_f16 v54, v55, v54
	v_pk_mul_f16 v55, 0x36a6b93d, v18 op_sel_hi:[1,0]
	v_pk_mul_f16 v25, 0x3b47ba0c, v19 op_sel_hi:[1,0]
	v_pk_add_f16 v20, v21, v20
	v_pk_add_f16 v11, v22, v24
	v_bfi_b32 v21, 0xffff, v48, v62
	v_bfi_b32 v22, 0xffff, v26, v23
	v_pk_add_f16 v7, v10, v7
	v_pk_fma_f16 v10, 0x34823b47, v15, v12 op_sel_hi:[1,0,1]
	v_pk_mul_f16 v12, 0xb08e3abb, v16 op_sel_hi:[1,0]
	v_fma_f16 v51, v18, 0xb08e, -v49
	v_add_f16_e32 v6, v46, v6
	v_fmamk_f16 v60, v18, 0xbbad, v53
	v_pk_fma_f16 v53, 0x3abbbbad, v18, v53 op_sel_hi:[1,0,1] neg_lo:[0,0,1] neg_hi:[0,0,1]
	v_pk_fma_f16 v13, 0x36a6b93d, v18, v25 op_sel_hi:[1,0,1] neg_lo:[0,0,1] neg_hi:[0,0,1]
	v_pk_add_f16 v11, v11, v20
	v_pk_add_f16 v20, v21, v22
	v_bfi_b32 v15, 0xffff, v49, v25
	v_bfi_b32 v16, 0xffff, v56, v55
	v_pk_add_f16 v7, v10, v7
	v_pk_fma_f16 v10, 0x3bebb853, v17, v12 op_sel_hi:[1,0,1]
	v_pk_mul_f16 v12, 0x3abbb93d, v18 op_sel_hi:[1,0]
	v_add_f16_e32 v6, v47, v6
	v_add_f16_e32 v51, v51, v35
	v_pk_add_f16 v11, v20, v11
	v_pk_add_f16 v15, v15, v16
	;; [unrolled: 1-line block ×5, first 2 shown]
	v_pk_fma_f16 v18, 0x3853ba0c, v19, v12 op_sel_hi:[1,0,1]
	v_mad_u32_u24 v35, v3, 22, 0
	v_pk_add_f16 v13, v15, v11
	v_alignbit_b32 v12, v51, v16, 16
	v_alignbit_b32 v11, v16, v17, 16
	v_pack_b32_f16 v10, v6, v17
	v_pk_add_f16 v6, v18, v7
	v_add_f16_e32 v15, v60, v52
	ds_store_b128 v35, v[10:13]
	ds_store_b32 v35, v6 offset:16
	ds_store_b16 v35, v15 offset:20
	v_mad_i32_i24 v7, 0xffffffec, v3, v35
	v_lshl_add_u32 v6, v2, 1, 0
	v_lshl_add_u32 v10, v4, 1, 0
	;; [unrolled: 1-line block ×4, first 2 shown]
	global_wb scope:SCOPE_SE
	s_wait_dscnt 0x0
	s_barrier_signal -1
	s_barrier_wait -1
	global_inv scope:SCOPE_SE
	ds_load_u16 v18, v7 offset:1694
	ds_load_u16 v17, v7 offset:2002
	;; [unrolled: 1-line block ×3, first 2 shown]
	ds_load_u16 v22, v6
	ds_load_u16 v23, v10
	;; [unrolled: 1-line block ×5, first 2 shown]
	ds_load_u16 v20, v7 offset:2618
	ds_load_u16 v19, v7 offset:2926
	v_mul_i32_i24_e32 v7, 0xffffffec, v3
	v_cmp_gt_u32_e64 s0, 0x4d, v3
	v_lshl_add_u32 v13, v8, 1, 0
                                        ; implicit-def: $vgpr21
	s_delay_alu instid0(VALU_DEP_3) | instskip(NEXT) | instid1(VALU_DEP_3)
	v_add_nc_u32_e32 v7, v35, v7
	s_and_saveexec_b32 s1, s0
	s_cbranch_execz .LBB0_15
; %bb.14:
	ds_load_u16 v15, v13
	ds_load_u16 v21, v7 offset:3234
.LBB0_15:
	s_wait_alu 0xfffe
	s_or_b32 exec_lo, exec_lo, s1
	v_lshrrev_b32_e32 v48, 16, v14
	v_add_f16_e32 v49, v44, v31
	v_sub_f16_e32 v43, v43, v47
	v_add_f16_e32 v47, v40, v32
	v_sub_f16_e32 v41, v41, v46
	v_add_f16_e32 v44, v44, v48
	v_add_f16_e32 v46, v38, v33
	v_sub_f16_e32 v39, v39, v45
	v_add_f16_e32 v45, v37, v34
	v_pk_mul_f16 v55, 0xba0cbb47, v41 op_sel_hi:[1,0]
	v_add_f16_e32 v40, v40, v44
	v_mul_f16_e32 v44, 0xb482, v43
	v_sub_f16_e32 v36, v36, v42
	v_mul_f16_e32 v51, 0x3853, v41
	v_pk_mul_f16 v56, 0x3482bbeb, v39 op_sel_hi:[1,0]
	v_add_f16_e32 v38, v38, v40
	v_fmamk_f16 v58, v49, 0xbbad, v44
	v_fma_f16 v63, v47, 0x36a6, -v55
	v_mul_f16_e32 v52, 0xba0c, v39
	v_pk_mul_f16 v57, 0x3bebba0c, v36 op_sel_hi:[1,0]
	v_add_f16_e32 v37, v37, v38
	v_pk_mul_f16 v38, 0xbb47b853, v43 op_sel_hi:[1,0]
	v_add_f16_e32 v58, v58, v48
	v_fmamk_f16 v59, v47, 0x3abb, v51
	v_mul_f16_e32 v54, 0x3b47, v36
	v_add_f16_e32 v37, v29, v37
	v_fma_f16 v62, v49, 0x3abb, -v38
	v_pk_fma_f16 v38, 0x36a63abb, v49, v38 op_sel_hi:[1,0,1]
	v_fmamk_f16 v60, v46, 0xb93d, v52
	v_add_f16_e32 v58, v59, v58
	v_add_f16_e32 v37, v30, v37
	;; [unrolled: 1-line block ×3, first 2 shown]
	v_pk_add_f16 v38, v38, v14 op_sel:[0,1]
	v_add_f16_e32 v29, v29, v30
	v_sub_f16_e32 v27, v27, v28
	v_add_f16_e32 v34, v34, v37
	v_pk_fma_f16 v37, 0xb93d36a6, v47, v55 op_sel_hi:[1,0,1]
	v_fma_f16 v55, v46, 0xb08e, -v56
	v_add_f16_e32 v48, v63, v48
	v_pk_mul_f16 v30, 0xba0cbbeb, v43 op_sel_hi:[1,0]
	v_add_f16_e32 v33, v33, v34
	v_pk_fma_f16 v34, 0xbbadb08e, v46, v56 op_sel_hi:[1,0,1]
	v_pk_add_f16 v37, v37, v38
	v_add_f16_e32 v38, v55, v48
	v_pk_mul_f16 v43, 0x3b473beb, v43 op_sel_hi:[1,0]
	v_add_f16_e32 v32, v32, v33
	v_fma_f16 v33, v45, 0xb93d, -v57
	v_mul_f16_e32 v42, 0xbbad, v49
	v_fmamk_f16 v61, v45, 0x36a6, v54
	v_add_f16_e32 v56, v60, v58
	v_add_f16_e32 v31, v31, v32
	v_pk_add_f16 v28, v34, v37
	v_add_f16_e32 v32, v33, v38
	v_pk_fma_f16 v33, 0xb08eb93d, v45, v57 op_sel_hi:[1,0,1]
	v_pk_mul_f16 v34, 0x3853b482, v27 op_sel_hi:[1,0]
	v_pk_mul_f16 v37, 0x3abbbbad, v29 op_sel_hi:[1,0]
	v_pk_fma_f16 v38, 0xb93db08e, v49, v30 op_sel_hi:[1,0,1]
	v_pk_mul_f16 v55, 0x3beb3482, v41 op_sel_hi:[1,0]
	v_pk_mul_f16 v57, 0xb93db08e, v49 op_sel_hi:[1,0]
	v_pk_fma_f16 v43, 0x36a6b08e, v49, v43 op_sel_hi:[1,0,1]
	v_pk_mul_f16 v41, 0x3a0cb482, v41 op_sel_hi:[1,0]
	v_mul_f16_e32 v50, 0x3abb, v47
	v_add_f16_e32 v48, v61, v56
	v_pk_add_f16 v28, v33, v28
	v_pk_fma_f16 v33, 0x3abbbbad, v29, v34 op_sel_hi:[1,0,1]
	v_sub_f16_e32 v34, v37, v34
	v_pk_add_f16 v37, v38, v14 op_sel:[0,1]
	v_pk_fma_f16 v38, 0xb08ebbad, v47, v55 op_sel_hi:[1,0,1]
	v_pk_mul_f16 v56, 0xb8533b47, v39 op_sel_hi:[1,0]
	v_pk_mul_f16 v58, 0xb08ebbad, v47 op_sel_hi:[1,0]
	v_pk_add_f16 v43, v43, v14 op_sel:[0,1]
	v_pk_fma_f16 v41, 0xb93dbbad, v47, v41 op_sel_hi:[1,0,1]
	v_pk_mul_f16 v39, 0xb482bb47, v39 op_sel_hi:[1,0]
	v_bfi_b32 v42, 0xffff, v42, v57
	v_bfi_b32 v30, 0xffff, v44, v30
	v_mul_f16_e32 v40, 0xb93d, v46
	v_pk_add_f16 v37, v38, v37
	v_pk_fma_f16 v38, 0x3abb36a6, v46, v56 op_sel_hi:[1,0,1]
	v_pk_mul_f16 v59, 0x3abb36a6, v46 op_sel_hi:[1,0]
	v_pk_mul_f16 v60, 0xb482b853, v36 op_sel_hi:[1,0]
	v_pk_add_f16 v41, v41, v43
	v_pk_fma_f16 v39, 0xbbad36a6, v46, v39 op_sel_hi:[1,0,1]
	v_pk_mul_f16 v36, 0xbbeb3853, v36 op_sel_hi:[1,0]
	v_pk_add_f16 v30, v42, v30 neg_lo:[0,1] neg_hi:[0,1]
	v_bfi_b32 v42, 0xffff, v50, v58
	v_bfi_b32 v43, 0xffff, v51, v55
	v_mul_f16_e32 v53, 0x36a6, v45
	v_pk_add_f16 v37, v38, v37
	v_pk_mul_f16 v38, 0xbbad3abb, v45 op_sel_hi:[1,0]
	v_pk_add_f16 v39, v39, v41
	v_pk_fma_f16 v36, 0xb08e3abb, v45, v36 op_sel_hi:[1,0,1]
	v_pk_add_f16 v14, v30, v14 op_sel:[0,1]
	v_pk_add_f16 v30, v42, v43 neg_lo:[0,1] neg_hi:[0,1]
	v_bfi_b32 v40, 0xffff, v40, v59
	v_bfi_b32 v41, 0xffff, v52, v56
	v_pk_fma_f16 v49, 0xbbad3abb, v45, v60 op_sel_hi:[1,0,1]
	v_pk_mul_f16 v44, 0x3b47ba0c, v27 op_sel_hi:[1,0]
	v_pk_mul_f16 v42, 0x36a6b93d, v29 op_sel_hi:[1,0]
	v_pk_add_f16 v36, v36, v39
	v_pk_add_f16 v14, v30, v14
	v_pk_add_f16 v30, v40, v41 neg_lo:[0,1] neg_hi:[0,1]
	v_bfi_b32 v38, 0xffff, v53, v38
	v_bfi_b32 v39, 0xffff, v54, v60
	v_mul_f16_e32 v40, 0xb08e, v29
	v_mul_f16_e32 v41, 0xbbeb, v27
	v_pk_add_f16 v37, v49, v37
	v_pk_fma_f16 v43, 0x36a6b93d, v29, v44 op_sel_hi:[1,0,1]
	v_pk_mul_f16 v27, 0xb8533a0c, v27 op_sel_hi:[1,0]
	v_pk_add_f16 v14, v30, v14
	v_pk_add_f16 v30, v38, v39 neg_lo:[0,1] neg_hi:[0,1]
	v_bfi_b32 v38, 0xffff, v40, v42
	v_bfi_b32 v39, 0xffff, v41, v44
	v_fmamk_f16 v40, v29, 0xb08e, v41
	v_pk_fma_f16 v27, 0x3abbb93d, v29, v27 op_sel_hi:[1,0,1]
	v_pk_add_f16 v37, v43, v37
	v_pk_add_f16 v29, v30, v14
	v_pk_add_f16 v30, v38, v39 neg_lo:[0,1] neg_hi:[0,1]
	v_add_f16_e32 v38, v40, v48
	v_pk_add_f16 v33, v33, v28
	v_add_f16_e32 v14, v34, v32
	v_pk_add_f16 v32, v27, v36
	v_pk_add_f16 v30, v30, v29
	v_alignbit_b32 v29, v38, v37, 16
	v_alignbit_b32 v28, v37, v33, 16
	v_pack_b32_f16 v27, v31, v33
	global_wb scope:SCOPE_SE
	s_wait_dscnt 0x0
	s_barrier_signal -1
	s_barrier_wait -1
	global_inv scope:SCOPE_SE
	ds_store_b128 v35, v[27:30]
	ds_store_b32 v35, v32 offset:16
	ds_store_b16 v35, v14 offset:20
	global_wb scope:SCOPE_SE
	s_wait_dscnt 0x0
	s_barrier_signal -1
	s_barrier_wait -1
	global_inv scope:SCOPE_SE
	ds_load_u16 v34, v7 offset:1694
	ds_load_u16 v32, v7 offset:2002
	;; [unrolled: 1-line block ×3, first 2 shown]
	ds_load_u16 v27, v6
	ds_load_u16 v28, v10
	;; [unrolled: 1-line block ×5, first 2 shown]
	ds_load_u16 v36, v7 offset:2618
	ds_load_u16 v35, v7 offset:2926
                                        ; implicit-def: $vgpr37
	s_and_saveexec_b32 s1, s0
	s_cbranch_execz .LBB0_17
; %bb.16:
	ds_load_u16 v14, v13
	ds_load_u16 v37, v7 offset:3234
.LBB0_17:
	s_wait_alu 0xfffe
	s_or_b32 exec_lo, exec_lo, s1
	v_and_b32_e32 v38, 0xff, v3
	v_and_b32_e32 v41, 0xffff, v4
	v_and_b32_e32 v40, 0xffff, v2
	v_and_b32_e32 v42, 0xffff, v9
	v_and_b32_e32 v43, 0xffff, v5
	v_mul_lo_u16 v38, 0x75, v38
	v_and_b32_e32 v44, 0xffff, v8
	v_mul_u32_u24_e32 v41, 0xba2f, v41
	v_mul_u32_u24_e32 v40, 0xba2f, v40
	;; [unrolled: 1-line block ×3, first 2 shown]
	v_lshrrev_b16 v38, 8, v38
	v_mul_u32_u24_e32 v43, 0xba2f, v43
	v_mul_u32_u24_e32 v44, 0xba2f, v44
	v_lshrrev_b32_e32 v45, 19, v40
	v_lshrrev_b32_e32 v46, 19, v42
	v_sub_nc_u16 v39, v3, v38
	v_lshrrev_b32_e32 v43, 19, v43
	v_lshrrev_b32_e32 v44, 19, v44
	s_delay_alu instid0(VALU_DEP_3) | instskip(NEXT) | instid1(VALU_DEP_3)
	v_lshrrev_b16 v39, 1, v39
	v_mul_lo_u16 v42, v43, 11
	s_delay_alu instid0(VALU_DEP_3) | instskip(SKIP_1) | instid1(VALU_DEP_4)
	v_mul_lo_u16 v49, v44, 11
	v_mul_u32_u24_e32 v43, 44, v43
	v_and_b32_e32 v39, 0x7f, v39
	s_delay_alu instid0(VALU_DEP_4) | instskip(NEXT) | instid1(VALU_DEP_4)
	v_sub_nc_u16 v5, v5, v42
	v_sub_nc_u16 v8, v8, v49
	s_delay_alu instid0(VALU_DEP_3)
	v_add_nc_u16 v38, v39, v38
	v_lshrrev_b32_e32 v39, 19, v41
	v_mul_lo_u16 v41, v46, 11
	v_and_b32_e32 v51, 0xffff, v5
	v_and_b32_e32 v52, 0xffff, v8
	v_lshrrev_b16 v47, 3, v38
	v_mul_lo_u16 v40, v39, 11
	v_mul_lo_u16 v38, v45, 11
	v_sub_nc_u16 v9, v9, v41
	v_lshlrev_b32_e32 v53, 2, v51
	v_mul_lo_u16 v48, v47, 11
	v_sub_nc_u16 v4, v4, v40
	v_sub_nc_u16 v38, v2, v38
	v_and_b32_e32 v50, 0xffff, v9
	v_lshlrev_b32_e32 v54, 2, v52
	v_sub_nc_u16 v40, v3, v48
	v_and_b32_e32 v4, 0xffff, v4
	v_and_b32_e32 v48, 0xffff, v38
	v_lshlrev_b32_e32 v41, 2, v50
	v_mul_u32_u24_e32 v45, 44, v45
	v_and_b32_e32 v49, 0xff, v40
	v_lshlrev_b32_e32 v38, 2, v4
	v_lshlrev_b32_e32 v5, 2, v48
	;; [unrolled: 1-line block ×3, first 2 shown]
	v_and_b32_e32 v47, 0xffff, v47
	v_lshlrev_b32_e32 v8, 2, v49
	s_clause 0x5
	global_load_b32 v42, v8, s[4:5]
	global_load_b32 v9, v5, s[4:5]
	;; [unrolled: 1-line block ×6, first 2 shown]
	v_mul_u32_u24_e32 v53, 44, v39
	v_mul_lo_u16 v38, v44, 22
	v_lshlrev_b32_e32 v44, 1, v48
	v_mul_u32_u24_e32 v54, 44, v46
	v_lshlrev_b32_e32 v48, 1, v50
	v_lshlrev_b32_e32 v50, 1, v51
	v_lshlrev_b32_e32 v39, 1, v52
	v_add3_u32 v46, 0, v45, v44
	v_add3_u32 v45, 0, v53, v4
	v_mul_u32_u24_e32 v4, 44, v47
	v_lshlrev_b32_e32 v47, 1, v49
	v_add3_u32 v44, 0, v54, v48
	v_add3_u32 v43, 0, v43, v50
	global_wb scope:SCOPE_SE
	s_wait_loadcnt_dscnt 0x0
	s_barrier_signal -1
	v_add3_u32 v47, 0, v4, v47
	s_barrier_wait -1
	global_inv scope:SCOPE_SE
	v_lshrrev_b32_e32 v53, 16, v42
	v_lshrrev_b32_e32 v52, 16, v9
	;; [unrolled: 1-line block ×6, first 2 shown]
	v_mul_f16_e32 v4, v34, v53
	v_mul_f16_e32 v54, v32, v52
	;; [unrolled: 1-line block ×6, first 2 shown]
	v_fma_f16 v4, v18, v42, -v4
	v_fma_f16 v54, v17, v9, -v54
	;; [unrolled: 1-line block ×6, first 2 shown]
	v_sub_f16_e32 v59, v26, v4
	v_sub_f16_e32 v54, v22, v54
	;; [unrolled: 1-line block ×6, first 2 shown]
	v_fma_f16 v26, v26, 2.0, -v59
	v_fma_f16 v22, v22, 2.0, -v54
	;; [unrolled: 1-line block ×5, first 2 shown]
	ds_store_b16 v47, v26
	ds_store_b16 v47, v59 offset:22
	ds_store_b16 v46, v22
	ds_store_b16 v46, v54 offset:22
	;; [unrolled: 2-line block ×5, first 2 shown]
	s_and_saveexec_b32 s1, s0
	s_cbranch_execz .LBB0_19
; %bb.18:
	v_and_b32_e32 v22, 0xffff, v38
	v_fma_f16 v15, v15, 2.0, -v4
	s_delay_alu instid0(VALU_DEP_2) | instskip(NEXT) | instid1(VALU_DEP_1)
	v_lshlrev_b32_e32 v22, 1, v22
	v_add3_u32 v22, 0, v39, v22
	ds_store_b16 v22, v15
	ds_store_b16 v22, v4 offset:22
.LBB0_19:
	s_wait_alu 0xfffe
	s_or_b32 exec_lo, exec_lo, s1
	v_mul_f16_e32 v15, v18, v53
	v_mul_f16_e32 v17, v17, v52
	;; [unrolled: 1-line block ×5, first 2 shown]
	v_fmac_f16_e32 v15, v34, v42
	v_mul_f16_e32 v25, v21, v48
	v_fmac_f16_e32 v17, v32, v9
	v_fmac_f16_e32 v18, v36, v41
	v_fmac_f16_e32 v19, v35, v5
	v_fmac_f16_e32 v16, v33, v40
	v_sub_f16_e32 v26, v31, v15
	v_fmac_f16_e32 v25, v37, v8
	v_sub_f16_e32 v32, v27, v17
	v_sub_f16_e32 v33, v29, v18
	;; [unrolled: 1-line block ×3, first 2 shown]
	global_wb scope:SCOPE_SE
	s_wait_dscnt 0x0
	s_barrier_signal -1
	s_barrier_wait -1
	global_inv scope:SCOPE_SE
	ds_load_u16 v22, v6
	ds_load_u16 v21, v10
	;; [unrolled: 1-line block ×3, first 2 shown]
	ds_load_u16 v18, v7 offset:1848
	ds_load_u16 v17, v7 offset:2156
	;; [unrolled: 1-line block ×3, first 2 shown]
	ds_load_u16 v8, v7
	ds_load_u16 v23, v12
	ds_load_u16 v9, v7 offset:2772
	ds_load_u16 v24, v13
	ds_load_u16 v19, v7 offset:3080
	v_sub_f16_e32 v16, v28, v16
	v_fma_f16 v31, v31, 2.0, -v26
	v_sub_f16_e32 v5, v14, v25
	v_fma_f16 v27, v27, 2.0, -v32
	v_fma_f16 v29, v29, 2.0, -v33
	;; [unrolled: 1-line block ×4, first 2 shown]
	global_wb scope:SCOPE_SE
	s_wait_dscnt 0x0
	s_barrier_signal -1
	s_barrier_wait -1
	global_inv scope:SCOPE_SE
	ds_store_b16 v47, v31
	ds_store_b16 v47, v26 offset:22
	ds_store_b16 v46, v27
	ds_store_b16 v46, v32 offset:22
	;; [unrolled: 2-line block ×5, first 2 shown]
	s_and_saveexec_b32 s1, s0
	s_cbranch_execz .LBB0_21
; %bb.20:
	v_and_b32_e32 v16, 0xffff, v38
	v_fma_f16 v14, v14, 2.0, -v5
	s_delay_alu instid0(VALU_DEP_2) | instskip(NEXT) | instid1(VALU_DEP_1)
	v_lshlrev_b32_e32 v16, 1, v16
	v_add3_u32 v16, 0, v39, v16
	ds_store_b16 v16, v14
	ds_store_b16 v16, v5 offset:22
.LBB0_21:
	s_wait_alu 0xfffe
	s_or_b32 exec_lo, exec_lo, s1
	v_lshrrev_b16 v14, 1, v3
	global_wb scope:SCOPE_SE
	s_wait_dscnt 0x0
	s_barrier_signal -1
	s_barrier_wait -1
	global_inv scope:SCOPE_SE
	v_and_b32_e32 v14, 0x7f, v14
	v_cmp_gt_u32_e64 s0, 0x58, v3
	s_delay_alu instid0(VALU_DEP_2) | instskip(NEXT) | instid1(VALU_DEP_1)
	v_mul_lo_u16 v14, 0xbb, v14
	v_lshrrev_b16 v14, 11, v14
	s_delay_alu instid0(VALU_DEP_1) | instskip(SKIP_1) | instid1(VALU_DEP_2)
	v_mul_lo_u16 v16, v14, 22
	v_and_b32_e32 v14, 0xffff, v14
	v_sub_nc_u16 v16, v3, v16
	s_delay_alu instid0(VALU_DEP_1) | instskip(NEXT) | instid1(VALU_DEP_1)
	v_and_b32_e32 v16, 0xff, v16
	v_mul_u32_u24_e32 v25, 10, v16
	v_lshlrev_b32_e32 v16, 1, v16
	s_delay_alu instid0(VALU_DEP_2)
	v_lshlrev_b32_e32 v25, 2, v25
	s_clause 0x2
	global_load_b128 v[39:42], v25, s[4:5] offset:44
	global_load_b128 v[43:46], v25, s[4:5] offset:60
	global_load_b64 v[47:48], v25, s[4:5] offset:76
	ds_load_u16 v32, v6
	ds_load_u16 v10, v10
	;; [unrolled: 1-line block ×4, first 2 shown]
	v_mul_u32_u24_e32 v12, 0x1e4, v14
	ds_load_u16 v14, v7
	ds_load_u16 v49, v7 offset:1848
	ds_load_u16 v50, v7 offset:2156
	;; [unrolled: 1-line block ×4, first 2 shown]
	ds_load_u16 v53, v13
	ds_load_u16 v54, v7 offset:3080
	global_wb scope:SCOPE_SE
	s_wait_loadcnt_dscnt 0x0
	s_barrier_signal -1
	s_barrier_wait -1
	v_add3_u32 v16, 0, v12, v16
	global_inv scope:SCOPE_SE
	v_lshrrev_b32_e32 v12, 16, v39
	v_lshrrev_b32_e32 v13, 16, v40
	;; [unrolled: 1-line block ×5, first 2 shown]
	v_mul_f16_e32 v56, v32, v12
	v_lshrrev_b32_e32 v26, 16, v42
	v_lshrrev_b32_e32 v27, 16, v43
	;; [unrolled: 1-line block ×5, first 2 shown]
	v_mul_f16_e32 v34, v22, v12
	v_mul_f16_e32 v57, v10, v13
	v_mul_f16_e32 v31, v21, v13
	v_mul_f16_e32 v64, v52, v38
	v_mul_f16_e32 v13, v9, v38
	v_mul_f16_e32 v12, v19, v55
	v_fma_f16 v38, v22, v39, -v56
	v_mul_f16_e32 v58, v11, v25
	v_mul_f16_e32 v30, v20, v25
	;; [unrolled: 1-line block ×11, first 2 shown]
	v_fmac_f16_e32 v34, v32, v39
	v_fma_f16 v37, v21, v40, -v57
	v_fmac_f16_e32 v12, v54, v48
	v_fma_f16 v39, v9, v47, -v64
	v_add_f16_e32 v9, v8, v38
	v_mul_f16_e32 v61, v49, v35
	v_mul_f16_e32 v62, v50, v36
	v_fmac_f16_e32 v31, v10, v40
	v_fma_f16 v36, v20, v41, -v58
	v_fmac_f16_e32 v30, v11, v41
	v_fmac_f16_e32 v29, v33, v42
	;; [unrolled: 1-line block ×6, first 2 shown]
	v_fma_f16 v40, v19, v48, -v65
	v_fmac_f16_e32 v13, v52, v47
	v_sub_f16_e32 v11, v34, v12
	v_add_f16_e32 v9, v9, v37
	v_fma_f16 v35, v23, v42, -v59
	v_fma_f16 v32, v24, v43, -v60
	;; [unrolled: 1-line block ×5, first 2 shown]
	v_add_f16_e32 v10, v38, v40
	v_sub_f16_e32 v19, v31, v13
	v_sub_f16_e32 v21, v30, v25
	;; [unrolled: 1-line block ×4, first 2 shown]
	v_mul_f16_e32 v42, 0xb482, v11
	v_pk_mul_f16 v46, 0xb853bb47, v11 op_sel_hi:[1,0]
	v_pk_mul_f16 v11, 0xbbebba0c, v11 op_sel_hi:[1,0]
	v_add_f16_e32 v9, v9, v36
	v_add_f16_e32 v18, v37, v39
	;; [unrolled: 1-line block ×5, first 2 shown]
	v_mul_f16_e32 v43, 0x3853, v19
	v_mul_f16_e32 v44, 0xba0c, v21
	;; [unrolled: 1-line block ×3, first 2 shown]
	v_pk_mul_f16 v47, 0xbb47ba0c, v19 op_sel_hi:[1,0]
	v_pk_mul_f16 v48, 0xbbeb3482, v21 op_sel_hi:[1,0]
	;; [unrolled: 1-line block ×8, first 2 shown]
	v_mul_f16_e32 v41, 0xbbeb, v41
	v_fma_f16 v52, v10, 0xbbad, -v42
	v_fmac_f16_e32 v42, 0xbbad, v10
	v_pk_fma_f16 v56, 0x3abb36a6, v10, v46 op_sel_hi:[1,0,1] neg_lo:[0,0,1] neg_hi:[0,0,1]
	v_pk_fma_f16 v61, 0xb08eb93d, v10, v11 op_sel_hi:[1,0,1] neg_lo:[0,0,1] neg_hi:[0,0,1]
	v_add_f16_e32 v9, v9, v35
	v_pk_fma_f16 v46, 0x3abb36a6, v10, v46 op_sel_hi:[1,0,1]
	v_pk_fma_f16 v10, 0xb08eb93d, v10, v11 op_sel_hi:[1,0,1]
	v_fma_f16 v53, v18, 0x3abb, -v43
	v_fmac_f16_e32 v43, 0x3abb, v18
	v_fma_f16 v54, v20, 0xb93d, -v44
	v_fmac_f16_e32 v44, 0xb93d, v20
	;; [unrolled: 2-line block ×3, first 2 shown]
	v_pk_fma_f16 v57, 0x36a6b93d, v18, v47 op_sel_hi:[1,0,1] neg_lo:[0,0,1] neg_hi:[0,0,1]
	v_pk_fma_f16 v47, 0x36a6b93d, v18, v47 op_sel_hi:[1,0,1]
	v_pk_fma_f16 v58, 0xb08ebbad, v20, v48 op_sel_hi:[1,0,1] neg_lo:[0,0,1] neg_hi:[0,0,1]
	v_pk_fma_f16 v48, 0xb08ebbad, v20, v48 op_sel_hi:[1,0,1]
	;; [unrolled: 2-line block ×8, first 2 shown]
	v_fma_f16 v62, v24, 0xb08e, -v41
	v_fmac_f16_e32 v41, 0xb08e, v24
	v_add_f16_e32 v24, v8, v52
	v_add_f16_e32 v42, v8, v42
	v_lshrrev_b32_e32 v52, 16, v56
	v_lshrrev_b32_e32 v67, 16, v61
	v_add_f16_e32 v61, v8, v61
	v_add_f16_e32 v9, v9, v32
	;; [unrolled: 1-line block ×3, first 2 shown]
	v_pk_add_f16 v10, v8, v10 op_sel_hi:[0,1]
	v_pk_add_f16 v46, v8, v46 op_sel_hi:[0,1]
	v_lshrrev_b32_e32 v63, 16, v57
	v_lshrrev_b32_e32 v68, 16, v11
	v_add_f16_e32 v24, v53, v24
	v_add_f16_e32 v42, v43, v42
	;; [unrolled: 1-line block ×7, first 2 shown]
	v_pk_add_f16 v10, v18, v10
	v_pk_add_f16 v46, v47, v46
	v_lshrrev_b32_e32 v64, 16, v58
	v_add_f16_e32 v18, v54, v24
	v_add_f16_e32 v24, v44, v42
	v_add_f16_e32 v42, v63, v43
	v_add_f16_e32 v11, v19, v11
	v_add_f16_e32 v9, v9, v17
	v_lshrrev_b32_e32 v69, 16, v19
	v_add_f16_e32 v43, v58, v52
	v_add_f16_e32 v8, v68, v8
	v_pk_add_f16 v10, v20, v10
	v_pk_add_f16 v44, v48, v46
	v_lshrrev_b32_e32 v65, 16, v59
	v_lshrrev_b32_e32 v70, 16, v21
	v_add_f16_e32 v20, v64, v42
	v_add_f16_e32 v11, v21, v11
	;; [unrolled: 1-line block ×6, first 2 shown]
	v_pk_add_f16 v10, v22, v10
	v_pk_add_f16 v42, v49, v44
	v_lshrrev_b32_e32 v66, 16, v60
	v_add_f16_e32 v18, v55, v18
	v_add_f16_e32 v20, v65, v20
	;; [unrolled: 1-line block ×3, first 2 shown]
	v_lshrrev_b32_e32 v71, 16, v23
	v_add_f16_e32 v22, v60, v24
	v_add_f16_e32 v24, v70, v8
	v_pk_add_f16 v8, v51, v10
	v_pk_add_f16 v9, v50, v42
	v_add_f16_e32 v10, v62, v18
	v_add_f16_e32 v18, v41, v19
	;; [unrolled: 1-line block ×6, first 2 shown]
	ds_store_b16_d16_hi v16, v8 offset:352
	ds_store_b16 v16, v9 offset:396
	ds_store_b16_d16_hi v16, v9 offset:440
	ds_store_b16 v16, v20
	ds_store_b16 v16, v19 offset:44
	ds_store_b16 v16, v22 offset:88
	;; [unrolled: 1-line block ×7, first 2 shown]
	global_wb scope:SCOPE_SE
	s_wait_dscnt 0x0
	s_barrier_signal -1
	s_barrier_wait -1
	global_inv scope:SCOPE_SE
	ds_load_u16 v18, v7
	ds_load_u16 v22, v7 offset:484
	ds_load_u16 v19, v7 offset:968
	;; [unrolled: 1-line block ×6, first 2 shown]
                                        ; implicit-def: $vgpr10
                                        ; implicit-def: $vgpr11
	s_and_saveexec_b32 s1, s0
	s_cbranch_execz .LBB0_23
; %bb.22:
	ds_load_u16 v8, v6
	ds_load_u16 v9, v7 offset:1276
	ds_load_u16 v4, v7 offset:2244
	;; [unrolled: 1-line block ×3, first 2 shown]
	s_wait_dscnt 0x3
	ds_load_u16_d16_hi v8, v7 offset:792
	s_wait_dscnt 0x3
	ds_load_u16_d16_hi v9, v7 offset:1760
	ds_load_u16 v11, v7 offset:2728
.LBB0_23:
	s_wait_alu 0xfffe
	s_or_b32 exec_lo, exec_lo, s1
	v_add_f16_e32 v41, v14, v34
	v_sub_f16_e32 v38, v38, v40
	v_add_f16_e32 v40, v31, v13
	v_sub_f16_e32 v37, v37, v39
	v_add_f16_e32 v39, v30, v25
	v_add_f16_e32 v31, v41, v31
	v_sub_f16_e32 v15, v36, v15
	v_add_f16_e32 v36, v29, v26
	;; [unrolled: 3-line block ×3, first 2 shown]
	v_add_f16_e32 v31, v28, v27
	v_mul_f16_e32 v33, 0xb482, v38
	v_sub_f16_e32 v17, v35, v17
	v_mul_f16_e32 v35, 0x3853, v37
	v_add_f16_e32 v29, v30, v29
	v_mul_f16_e32 v30, 0xba0c, v15
	v_pk_mul_f16 v42, 0xbbebb853, v38 op_sel_hi:[1,0]
	v_mul_f16_e32 v41, 0x3b47, v17
	v_fmamk_f16 v44, v40, 0x3abb, v35
	v_add_f16_e32 v28, v29, v28
	v_fmamk_f16 v29, v34, 0xbbad, v33
	v_fma_f16 v33, v34, 0xbbad, -v33
	v_fma_f16 v35, v40, 0x3abb, -v35
	v_pk_mul_f16 v43, 0x3482bb47, v37 op_sel_hi:[1,0]
	v_add_f16_e32 v27, v28, v27
	v_add_f16_e32 v29, v14, v29
	;; [unrolled: 1-line block ×3, first 2 shown]
	v_fmamk_f16 v28, v39, 0xb93d, v30
	v_fma_f16 v30, v39, 0xb93d, -v30
	v_add_f16_e32 v26, v27, v26
	v_add_f16_e32 v29, v44, v29
	;; [unrolled: 1-line block ×3, first 2 shown]
	v_fmamk_f16 v27, v36, 0x36a6, v41
	v_fma_f16 v41, v36, 0x36a6, -v41
	v_add_f16_e32 v25, v26, v25
	v_pk_fma_f16 v26, 0xb08e3abb, v34, v42 op_sel_hi:[1,0,1]
	v_add_f16_e32 v28, v28, v29
	v_add_f16_e32 v29, v30, v33
	v_pk_fma_f16 v35, 0xb08e3abb, v34, v42 op_sel_hi:[1,0,1] neg_lo:[0,0,1] neg_hi:[0,0,1]
	v_add_f16_e32 v13, v25, v13
	v_pk_fma_f16 v25, 0xbbad36a6, v40, v43 op_sel_hi:[1,0,1]
	v_lshrrev_b32_e32 v30, 16, v26
	v_add_f16_e32 v27, v27, v28
	v_add_f16_e32 v28, v41, v29
	;; [unrolled: 1-line block ×4, first 2 shown]
	v_pk_mul_f16 v13, 0x3b47bbeb, v15 op_sel_hi:[1,0]
	v_add_f16_e32 v26, v14, v30
	v_pk_add_f16 v30, v14, v35 op_sel_hi:[0,1]
	v_lshrrev_b32_e32 v33, 16, v25
	v_pk_fma_f16 v35, 0xbbad36a6, v40, v43 op_sel_hi:[1,0,1] neg_lo:[0,0,1] neg_hi:[0,0,1]
	v_pk_fma_f16 v41, 0x36a6b08e, v39, v13 op_sel_hi:[1,0,1]
	v_add_f16_e32 v12, v25, v12
	v_pk_mul_f16 v25, 0xb853ba0c, v17 op_sel_hi:[1,0]
	v_add_f16_e32 v26, v33, v26
	v_pk_add_f16 v30, v35, v30
	v_lshrrev_b32_e32 v33, 16, v41
	v_pk_fma_f16 v13, 0x36a6b08e, v39, v13 op_sel_hi:[1,0,1] neg_lo:[0,0,1] neg_hi:[0,0,1]
	v_pk_fma_f16 v35, 0x3abbb93d, v36, v25 op_sel_hi:[1,0,1]
	v_add_f16_e32 v12, v41, v12
	v_pk_mul_f16 v41, 0xba0cb482, v32 op_sel_hi:[1,0]
	v_add_f16_e32 v26, v33, v26
	v_pk_add_f16 v13, v13, v30
	v_lshrrev_b32_e32 v30, 16, v35
	v_pk_fma_f16 v25, 0x3abbb93d, v36, v25 op_sel_hi:[1,0,1] neg_lo:[0,0,1] neg_hi:[0,0,1]
	v_pk_fma_f16 v33, 0xb93dbbad, v31, v41 op_sel_hi:[1,0,1]
	v_pk_mul_f16 v38, 0xbb47ba0c, v38 op_sel_hi:[1,0]
	v_add_f16_e32 v12, v35, v12
	v_add_f16_e32 v26, v30, v26
	v_pk_add_f16 v13, v25, v13
	v_lshrrev_b32_e32 v25, 16, v33
	v_pk_fma_f16 v30, 0x36a6b93d, v34, v38 op_sel_hi:[1,0,1]
	v_pk_fma_f16 v35, 0xb93dbbad, v31, v41 op_sel_hi:[1,0,1] neg_lo:[0,0,1] neg_hi:[0,0,1]
	v_pk_mul_f16 v37, 0xba0c3beb, v37 op_sel_hi:[1,0]
	v_add_f16_e32 v33, v33, v12
	v_add_f16_e32 v25, v25, v26
	v_lshrrev_b32_e32 v26, 16, v30
	v_pk_add_f16 v12, v35, v13
	v_pk_fma_f16 v13, 0xb93db08e, v40, v37 op_sel_hi:[1,0,1]
	v_pk_fma_f16 v34, 0x36a6b93d, v34, v38 op_sel_hi:[1,0,1] neg_lo:[0,0,1] neg_hi:[0,0,1]
	v_pk_mul_f16 v15, 0x3482b853, v15 op_sel_hi:[1,0]
	v_add_f16_e32 v26, v14, v26
	v_add_f16_e32 v30, v14, v30
	v_lshrrev_b32_e32 v35, 16, v13
	v_pk_add_f16 v14, v14, v34 op_sel_hi:[0,1]
	v_pk_fma_f16 v34, 0xbbad3abb, v39, v15 op_sel_hi:[1,0,1]
	v_pk_mul_f16 v17, 0x3bebb482, v17 op_sel_hi:[1,0]
	v_pk_fma_f16 v37, 0xb93db08e, v40, v37 op_sel_hi:[1,0,1] neg_lo:[0,0,1] neg_hi:[0,0,1]
	v_add_f16_e32 v26, v35, v26
	v_add_f16_e32 v13, v13, v30
	v_lshrrev_b32_e32 v30, 16, v34
	v_pk_fma_f16 v35, 0xb08ebbad, v36, v17 op_sel_hi:[1,0,1]
	v_pk_add_f16 v14, v37, v14
	v_pk_fma_f16 v15, 0xbbad3abb, v39, v15 op_sel_hi:[1,0,1] neg_lo:[0,0,1] neg_hi:[0,0,1]
	v_pk_mul_f16 v37, 0x38533b47, v32 op_sel_hi:[1,0]
	v_add_f16_e32 v26, v30, v26
	v_lshrrev_b32_e32 v30, 16, v35
	v_add_f16_e32 v13, v34, v13
	v_pk_add_f16 v14, v15, v14
	v_pk_fma_f16 v17, 0xb08ebbad, v36, v17 op_sel_hi:[1,0,1] neg_lo:[0,0,1] neg_hi:[0,0,1]
	v_pk_fma_f16 v15, 0x3abb36a6, v31, v37 op_sel_hi:[1,0,1]
	v_add_f16_e32 v26, v30, v26
	v_mul_f16_e32 v30, 0xbbeb, v32
	v_add_f16_e32 v13, v35, v13
	v_pk_add_f16 v14, v17, v14
	v_pk_fma_f16 v17, 0x3abb36a6, v31, v37 op_sel_hi:[1,0,1] neg_lo:[0,0,1] neg_hi:[0,0,1]
	v_lshrrev_b32_e32 v32, 16, v15
	v_fmamk_f16 v34, v31, 0xb08e, v30
	v_fma_f16 v30, v31, 0xb08e, -v30
	v_add_f16_e32 v31, v15, v13
	v_pk_add_f16 v13, v17, v14
	v_add_f16_e32 v26, v32, v26
	v_add_f16_e32 v17, v34, v27
	;; [unrolled: 1-line block ×3, first 2 shown]
	global_wb scope:SCOPE_SE
	s_wait_dscnt 0x0
	s_barrier_signal -1
	s_barrier_wait -1
	global_inv scope:SCOPE_SE
	v_lshrrev_b32_e32 v14, 16, v12
	v_lshrrev_b32_e32 v15, 16, v13
	ds_store_b16 v16, v29
	ds_store_b16 v16, v33 offset:44
	ds_store_b16 v16, v26 offset:88
	;; [unrolled: 1-line block ×10, first 2 shown]
	global_wb scope:SCOPE_SE
	s_wait_dscnt 0x0
	s_barrier_signal -1
	s_barrier_wait -1
	global_inv scope:SCOPE_SE
	ds_load_u16 v25, v7
	ds_load_u16 v27, v7 offset:484
	ds_load_u16 v26, v7 offset:968
	;; [unrolled: 1-line block ×6, first 2 shown]
                                        ; implicit-def: $vgpr17
                                        ; implicit-def: $vgpr16
	s_and_saveexec_b32 s1, s0
	s_cbranch_execz .LBB0_25
; %bb.24:
	ds_load_u16 v13, v6
	ds_load_u16 v14, v7 offset:792
	ds_load_u16 v15, v7 offset:1276
	;; [unrolled: 1-line block ×6, first 2 shown]
.LBB0_25:
	s_wait_alu 0xfffe
	s_or_b32 exec_lo, exec_lo, s1
	s_and_saveexec_b32 s1, vcc_lo
	s_cbranch_execz .LBB0_28
; %bb.26:
	v_add_nc_u32_e32 v53, 0x1e4, v3
	v_mul_u32_u24_e32 v6, 6, v3
	v_mad_co_u64_u32 v[36:37], null, s8, v3, 0
	v_add_nc_u32_e32 v54, 0x2d6, v3
	s_delay_alu instid0(VALU_DEP_4) | instskip(SKIP_2) | instid1(VALU_DEP_4)
	v_mad_co_u64_u32 v[40:41], null, s8, v53, 0
	v_add_nc_u32_e32 v52, 0xf2, v3
	v_add_nc_u32_e32 v55, 0x3c8, v3
	v_mad_co_u64_u32 v[42:43], null, s8, v54, 0
	v_add_nc_u32_e32 v57, 0x5ac, v3
	s_delay_alu instid0(VALU_DEP_4)
	v_mad_co_u64_u32 v[38:39], null, s8, v52, 0
	v_lshlrev_b32_e32 v6, 2, v6
	v_mad_co_u64_u32 v[44:45], null, s8, v55, 0
	v_add_nc_u32_e32 v56, 0x4ba, v3
	v_mad_co_u64_u32 v[48:49], null, s8, v57, 0
	v_mad_co_u64_u32 v[50:51], null, s9, v3, v[37:38]
	v_mov_b32_e32 v37, v39
	s_clause 0x1
	global_load_b128 v[32:35], v6, s[4:5] offset:924
	global_load_b64 v[6:7], v6, s[4:5] offset:940
	v_mov_b32_e32 v39, v41
	v_mov_b32_e32 v41, v43
	;; [unrolled: 1-line block ×3, first 2 shown]
	v_mad_co_u64_u32 v[46:47], null, s8, v56, 0
	v_mad_co_u64_u32 v[51:52], null, s9, v52, v[37:38]
	;; [unrolled: 1-line block ×4, first 2 shown]
	s_delay_alu instid0(VALU_DEP_4) | instskip(SKIP_3) | instid1(VALU_DEP_4)
	v_mov_b32_e32 v45, v47
	v_mad_co_u64_u32 v[54:55], null, s9, v55, v[43:44]
	v_mov_b32_e32 v47, v49
	v_mov_b32_e32 v37, v50
	v_mad_co_u64_u32 v[55:56], null, s9, v56, v[45:46]
	v_mov_b32_e32 v39, v51
	s_delay_alu instid0(VALU_DEP_4)
	v_mad_co_u64_u32 v[56:57], null, s9, v57, v[47:48]
	v_mov_b32_e32 v41, v52
	v_mov_b32_e32 v43, v53
	;; [unrolled: 1-line block ×4, first 2 shown]
	v_lshlrev_b64_e32 v[36:37], 2, v[36:37]
	v_add_co_u32 v0, vcc_lo, s10, v0
	v_mov_b32_e32 v49, v56
	s_wait_alu 0xfffd
	v_add_co_ci_u32_e32 v1, vcc_lo, s11, v1, vcc_lo
	v_lshlrev_b64_e32 v[38:39], 2, v[38:39]
	v_lshlrev_b64_e32 v[40:41], 2, v[40:41]
	v_add_co_u32 v36, vcc_lo, v0, v36
	s_wait_alu 0xfffd
	v_add_co_ci_u32_e32 v37, vcc_lo, v1, v37, vcc_lo
	v_lshlrev_b64_e32 v[42:43], 2, v[42:43]
	v_add_co_u32 v38, vcc_lo, v0, v38
	s_wait_alu 0xfffd
	v_add_co_ci_u32_e32 v39, vcc_lo, v1, v39, vcc_lo
	;; [unrolled: 4-line block ×5, first 2 shown]
	v_add_co_u32 v46, vcc_lo, v0, v46
	s_wait_alu 0xfffd
	v_add_co_ci_u32_e32 v47, vcc_lo, v1, v47, vcc_lo
	v_add_co_u32 v48, vcc_lo, v0, v48
	s_wait_alu 0xfffd
	v_add_co_ci_u32_e32 v49, vcc_lo, v1, v49, vcc_lo
	s_wait_loadcnt 0x1
	v_lshrrev_b32_e32 v50, 16, v32
	v_lshrrev_b32_e32 v51, 16, v33
	s_wait_loadcnt 0x0
	v_lshrrev_b32_e32 v52, 16, v7
	v_lshrrev_b32_e32 v55, 16, v6
	;; [unrolled: 1-line block ×4, first 2 shown]
	s_wait_dscnt 0x5
	v_mul_f16_e32 v56, v27, v50
	s_wait_dscnt 0x0
	v_mul_f16_e32 v57, v31, v52
	v_mul_f16_e32 v60, v26, v51
	;; [unrolled: 1-line block ×11, first 2 shown]
	v_fma_f16 v22, v22, v32, -v56
	v_fma_f16 v24, v24, v7, -v57
	;; [unrolled: 1-line block ×4, first 2 shown]
	v_fmac_f16_e32 v52, v31, v7
	v_fmac_f16_e32 v50, v27, v32
	;; [unrolled: 1-line block ×4, first 2 shown]
	v_fma_f16 v23, v23, v35, -v58
	v_fma_f16 v20, v20, v34, -v59
	v_fmac_f16_e32 v54, v28, v34
	v_fmac_f16_e32 v53, v29, v35
	v_sub_f16_e32 v6, v22, v24
	v_sub_f16_e32 v26, v19, v21
	v_add_f16_e32 v27, v50, v52
	v_add_f16_e32 v29, v51, v55
	;; [unrolled: 1-line block ×4, first 2 shown]
	v_sub_f16_e32 v7, v23, v20
	v_add_f16_e32 v28, v53, v54
	v_add_f16_e32 v20, v23, v20
	v_sub_f16_e32 v21, v50, v52
	v_sub_f16_e32 v23, v53, v54
	;; [unrolled: 1-line block ×3, first 2 shown]
	v_add_f16_e32 v34, v27, v29
	v_add_f16_e32 v51, v22, v19
	v_sub_f16_e32 v30, v6, v7
	v_sub_f16_e32 v31, v7, v26
	v_add_f16_e32 v7, v7, v26
	v_sub_f16_e32 v32, v27, v28
	v_sub_f16_e32 v33, v28, v29
	;; [unrolled: 1-line block ×6, first 2 shown]
	v_add_f16_e32 v23, v23, v24
	v_sub_f16_e32 v26, v26, v6
	v_sub_f16_e32 v19, v19, v22
	;; [unrolled: 1-line block ×3, first 2 shown]
	v_add_f16_e32 v28, v28, v34
	v_add_f16_e32 v20, v20, v51
	v_sub_f16_e32 v27, v29, v27
	v_mul_f16_e32 v24, 0xb846, v31
	v_mul_f16_e32 v29, 0x2b26, v33
	;; [unrolled: 1-line block ×5, first 2 shown]
	v_add_f16_e32 v21, v21, v23
	v_mul_f16_e32 v23, 0x3b00, v26
	v_mul_f16_e32 v50, 0x3b00, v22
	v_add_f16_e32 v25, v25, v28
	v_add_f16_e32 v18, v18, v20
	;; [unrolled: 1-line block ×3, first 2 shown]
	v_mul_f16_e32 v7, 0x3a52, v32
	v_fmamk_f16 v51, v30, 0x3574, v24
	v_fmamk_f16 v32, v32, 0x3a52, v29
	;; [unrolled: 1-line block ×4, first 2 shown]
	v_fma_f16 v23, v30, 0xb574, -v23
	v_fma_f16 v30, v19, 0xb9e0, -v31
	;; [unrolled: 1-line block ×5, first 2 shown]
	v_fmamk_f16 v26, v28, 0xbcab, v25
	v_fmamk_f16 v20, v20, 0xbcab, v18
	v_fma_f16 v7, v27, 0xb9e0, -v7
	v_fma_f16 v27, v27, 0x39e0, -v29
	;; [unrolled: 1-line block ×3, first 2 shown]
	v_fmac_f16_e32 v51, 0x370e, v6
	v_fmac_f16_e32 v53, 0x370e, v21
	;; [unrolled: 1-line block ×6, first 2 shown]
	v_pack_b32_f16 v6, v18, v25
	v_add_f16_e32 v18, v32, v26
	v_add_f16_e32 v21, v35, v20
	;; [unrolled: 1-line block ×6, first 2 shown]
	global_store_b32 v[36:37], v6, off
	v_add_f16_e32 v6, v51, v18
	v_sub_f16_e32 v20, v21, v53
	v_sub_f16_e32 v18, v18, v51
	v_add_f16_e32 v21, v53, v21
	v_add_f16_e32 v27, v23, v7
	v_sub_f16_e32 v7, v7, v23
	v_add_f16_e32 v23, v31, v25
	v_sub_f16_e32 v28, v26, v24
	;; [unrolled: 2-line block ×4, first 2 shown]
	v_pack_b32_f16 v18, v21, v18
	v_pack_b32_f16 v7, v23, v7
	v_pack_b32_f16 v21, v26, v24
	v_pack_b32_f16 v19, v19, v28
	v_pack_b32_f16 v22, v22, v27
	v_pack_b32_f16 v6, v20, v6
	s_clause 0x5
	global_store_b32 v[38:39], v18, off
	global_store_b32 v[40:41], v7, off
	;; [unrolled: 1-line block ×6, first 2 shown]
	s_and_b32 exec_lo, exec_lo, s0
	s_cbranch_execz .LBB0_28
; %bb.27:
	v_dual_mov_b32 v7, 0 :: v_dual_add_nc_u32 v6, 0xffffffa8, v3
	v_add_nc_u32_e32 v34, 0x9a, v3
	v_add_nc_u32_e32 v36, 0x18c, v3
	;; [unrolled: 1-line block ×3, first 2 shown]
	s_delay_alu instid0(VALU_DEP_4)
	v_cndmask_b32_e64 v2, v6, v2, s0
	v_add_nc_u32_e32 v38, 0x370, v3
	v_add_nc_u32_e32 v39, 0x462, v3
	;; [unrolled: 1-line block ×4, first 2 shown]
	v_mul_i32_i24_e32 v6, 6, v2
	v_mad_co_u64_u32 v[2:3], null, s8, v34, 0
	v_mad_co_u64_u32 v[24:25], null, s8, v37, 0
	s_delay_alu instid0(VALU_DEP_3) | instskip(SKIP_3) | instid1(VALU_DEP_4)
	v_lshlrev_b64_e32 v[6:7], 2, v[6:7]
	v_mad_co_u64_u32 v[26:27], null, s8, v38, 0
	v_mad_co_u64_u32 v[28:29], null, s8, v39, 0
	;; [unrolled: 1-line block ×3, first 2 shown]
	v_add_co_u32 v6, vcc_lo, s4, v6
	s_wait_alu 0xfffd
	v_add_co_ci_u32_e32 v7, vcc_lo, s5, v7, vcc_lo
	v_mad_co_u64_u32 v[32:33], null, s8, v41, 0
	s_clause 0x1
	global_load_b128 v[18:21], v[6:7], off offset:924
	global_load_b64 v[6:7], v[6:7], off offset:940
	v_mov_b32_e32 v3, v34
	v_mad_co_u64_u32 v[22:23], null, s8, v36, 0
	v_lshrrev_b32_e32 v42, 16, v8
	s_delay_alu instid0(VALU_DEP_3) | instskip(NEXT) | instid1(VALU_DEP_3)
	v_lshlrev_b64_e32 v[2:3], 2, v[2:3]
	v_mad_co_u64_u32 v[35:36], null, s9, v36, v[23:24]
	v_mad_co_u64_u32 v[36:37], null, s9, v37, v[25:26]
	s_delay_alu instid0(VALU_DEP_3) | instskip(SKIP_1) | instid1(VALU_DEP_4)
	v_add_co_u32 v2, vcc_lo, v0, v2
	s_wait_alu 0xfffd
	v_add_co_ci_u32_e32 v3, vcc_lo, v1, v3, vcc_lo
	s_delay_alu instid0(VALU_DEP_4) | instskip(NEXT) | instid1(VALU_DEP_4)
	v_mov_b32_e32 v23, v35
	v_mov_b32_e32 v25, v36
	v_mad_co_u64_u32 v[37:38], null, s9, v38, v[27:28]
	s_delay_alu instid0(VALU_DEP_3) | instskip(NEXT) | instid1(VALU_DEP_3)
	v_lshlrev_b64_e32 v[22:23], 2, v[22:23]
	v_lshlrev_b64_e32 v[24:25], 2, v[24:25]
	s_delay_alu instid0(VALU_DEP_3) | instskip(SKIP_1) | instid1(VALU_DEP_4)
	v_mov_b32_e32 v27, v37
	v_mad_co_u64_u32 v[30:31], null, s8, v40, 0
	v_add_co_u32 v22, vcc_lo, v0, v22
	s_delay_alu instid0(VALU_DEP_3)
	v_lshlrev_b64_e32 v[26:27], 2, v[26:27]
	s_wait_alu 0xfffd
	v_add_co_ci_u32_e32 v23, vcc_lo, v1, v23, vcc_lo
	v_add_co_u32 v24, vcc_lo, v0, v24
	v_mad_co_u64_u32 v[38:39], null, s9, v39, v[29:30]
	v_mad_co_u64_u32 v[39:40], null, s9, v40, v[31:32]
	;; [unrolled: 1-line block ×3, first 2 shown]
	s_wait_alu 0xfffd
	v_add_co_ci_u32_e32 v25, vcc_lo, v1, v25, vcc_lo
	s_delay_alu instid0(VALU_DEP_4) | instskip(SKIP_3) | instid1(VALU_DEP_4)
	v_mov_b32_e32 v29, v38
	v_add_co_u32 v26, vcc_lo, v0, v26
	v_mov_b32_e32 v31, v39
	v_mov_b32_e32 v33, v40
	v_lshlrev_b64_e32 v[28:29], 2, v[28:29]
	s_wait_alu 0xfffd
	v_add_co_ci_u32_e32 v27, vcc_lo, v1, v27, vcc_lo
	v_lshlrev_b64_e32 v[30:31], 2, v[30:31]
	v_lshlrev_b64_e32 v[32:33], 2, v[32:33]
	v_lshrrev_b32_e32 v41, 16, v9
	v_add_co_u32 v28, vcc_lo, v0, v28
	s_wait_alu 0xfffd
	v_add_co_ci_u32_e32 v29, vcc_lo, v1, v29, vcc_lo
	v_add_co_u32 v30, vcc_lo, v0, v30
	s_wait_alu 0xfffd
	v_add_co_ci_u32_e32 v31, vcc_lo, v1, v31, vcc_lo
	;; [unrolled: 3-line block ×3, first 2 shown]
	s_wait_loadcnt 0x1
	v_lshrrev_b32_e32 v32, 16, v18
	v_lshrrev_b32_e32 v33, 16, v19
	;; [unrolled: 1-line block ×3, first 2 shown]
	s_wait_loadcnt 0x0
	v_lshrrev_b32_e32 v36, 16, v6
	v_lshrrev_b32_e32 v37, 16, v7
	;; [unrolled: 1-line block ×3, first 2 shown]
	v_mul_f16_e32 v38, v14, v32
	v_mul_f16_e32 v32, v42, v32
	;; [unrolled: 1-line block ×12, first 2 shown]
	v_fma_f16 v38, v42, v18, -v38
	v_fmac_f16_e32 v32, v14, v18
	v_fma_f16 v9, v9, v19, -v39
	v_fmac_f16_e32 v33, v15, v19
	;; [unrolled: 2-line block ×3, first 2 shown]
	v_fmac_f16_e32 v35, v5, v21
	v_fma_f16 v5, v11, v6, -v44
	v_fmac_f16_e32 v36, v16, v6
	v_fma_f16 v14, v41, v20, -v40
	;; [unrolled: 2-line block ×3, first 2 shown]
	v_add_f16_e32 v6, v38, v10
	v_add_f16_e32 v7, v32, v37
	;; [unrolled: 1-line block ×4, first 2 shown]
	v_sub_f16_e32 v10, v38, v10
	v_sub_f16_e32 v11, v32, v37
	;; [unrolled: 1-line block ×4, first 2 shown]
	v_add_f16_e32 v16, v14, v4
	v_add_f16_e32 v17, v34, v35
	v_sub_f16_e32 v4, v4, v14
	v_sub_f16_e32 v14, v35, v34
	v_add_f16_e32 v18, v12, v6
	v_add_f16_e32 v19, v15, v7
	v_sub_f16_e32 v20, v12, v6
	v_sub_f16_e32 v21, v15, v7
	;; [unrolled: 1-line block ×6, first 2 shown]
	v_add_f16_e32 v32, v4, v5
	v_add_f16_e32 v33, v14, v9
	v_sub_f16_e32 v34, v4, v5
	v_sub_f16_e32 v35, v14, v9
	;; [unrolled: 1-line block ×4, first 2 shown]
	v_add_f16_e32 v16, v16, v18
	v_add_f16_e32 v17, v17, v19
	v_sub_f16_e32 v4, v10, v4
	v_sub_f16_e32 v14, v11, v14
	v_add_f16_e32 v10, v32, v10
	v_add_f16_e32 v11, v33, v11
	v_mul_f16_e32 v6, 0x3a52, v6
	v_mul_f16_e32 v7, 0x3a52, v7
	;; [unrolled: 1-line block ×8, first 2 shown]
	v_add_f16_e32 v8, v8, v16
	v_add_f16_e32 v13, v13, v17
	v_fmamk_f16 v12, v12, 0x2b26, v6
	v_fmamk_f16 v15, v15, 0x2b26, v7
	v_fma_f16 v18, v20, 0x39e0, -v18
	v_fma_f16 v19, v21, 0x39e0, -v19
	;; [unrolled: 1-line block ×4, first 2 shown]
	v_fmamk_f16 v20, v4, 0x3574, v32
	v_fmamk_f16 v21, v14, 0x3574, v33
	v_fma_f16 v5, v5, 0x3b00, -v32
	v_fma_f16 v9, v9, 0x3b00, -v33
	;; [unrolled: 1-line block ×4, first 2 shown]
	v_fmamk_f16 v16, v16, 0xbcab, v8
	v_fmamk_f16 v17, v17, 0xbcab, v13
	v_fmac_f16_e32 v20, 0x370e, v10
	v_fmac_f16_e32 v21, 0x370e, v11
	v_fmac_f16_e32 v5, 0x370e, v10
	v_fmac_f16_e32 v9, 0x370e, v11
	v_fmac_f16_e32 v4, 0x370e, v10
	v_fmac_f16_e32 v14, 0x370e, v11
	v_pack_b32_f16 v8, v8, v13
	v_add_f16_e32 v10, v12, v16
	v_add_f16_e32 v11, v15, v17
	;; [unrolled: 1-line block ×6, first 2 shown]
	global_store_b32 v[2:3], v8, off
	v_add_f16_e32 v2, v21, v10
	v_sub_f16_e32 v3, v11, v20
	v_add_f16_e32 v8, v14, v6
	v_sub_f16_e32 v15, v7, v4
	v_sub_f16_e32 v16, v12, v9
	v_add_f16_e32 v17, v5, v13
	v_add_f16_e32 v9, v9, v12
	v_sub_f16_e32 v5, v13, v5
	v_sub_f16_e32 v6, v6, v14
	v_add_f16_e32 v4, v4, v7
	v_sub_f16_e32 v7, v10, v21
	v_add_f16_e32 v10, v20, v11
	v_pack_b32_f16 v2, v2, v3
	v_pack_b32_f16 v3, v8, v15
	;; [unrolled: 1-line block ×6, first 2 shown]
	s_clause 0x5
	global_store_b32 v[22:23], v2, off
	global_store_b32 v[24:25], v3, off
	;; [unrolled: 1-line block ×6, first 2 shown]
.LBB0_28:
	s_nop 0
	s_sendmsg sendmsg(MSG_DEALLOC_VGPRS)
	s_endpgm
	.section	.rodata,"a",@progbits
	.p2align	6, 0x0
	.amdhsa_kernel fft_rtc_fwd_len1694_factors_11_2_11_7_wgs_154_tpt_154_halfLds_half_ip_CI_sbrr_dirReg
		.amdhsa_group_segment_fixed_size 0
		.amdhsa_private_segment_fixed_size 0
		.amdhsa_kernarg_size 88
		.amdhsa_user_sgpr_count 2
		.amdhsa_user_sgpr_dispatch_ptr 0
		.amdhsa_user_sgpr_queue_ptr 0
		.amdhsa_user_sgpr_kernarg_segment_ptr 1
		.amdhsa_user_sgpr_dispatch_id 0
		.amdhsa_user_sgpr_private_segment_size 0
		.amdhsa_wavefront_size32 1
		.amdhsa_uses_dynamic_stack 0
		.amdhsa_enable_private_segment 0
		.amdhsa_system_sgpr_workgroup_id_x 1
		.amdhsa_system_sgpr_workgroup_id_y 0
		.amdhsa_system_sgpr_workgroup_id_z 0
		.amdhsa_system_sgpr_workgroup_info 0
		.amdhsa_system_vgpr_workitem_id 0
		.amdhsa_next_free_vgpr 72
		.amdhsa_next_free_sgpr 35
		.amdhsa_reserve_vcc 1
		.amdhsa_float_round_mode_32 0
		.amdhsa_float_round_mode_16_64 0
		.amdhsa_float_denorm_mode_32 3
		.amdhsa_float_denorm_mode_16_64 3
		.amdhsa_fp16_overflow 0
		.amdhsa_workgroup_processor_mode 1
		.amdhsa_memory_ordered 1
		.amdhsa_forward_progress 0
		.amdhsa_round_robin_scheduling 0
		.amdhsa_exception_fp_ieee_invalid_op 0
		.amdhsa_exception_fp_denorm_src 0
		.amdhsa_exception_fp_ieee_div_zero 0
		.amdhsa_exception_fp_ieee_overflow 0
		.amdhsa_exception_fp_ieee_underflow 0
		.amdhsa_exception_fp_ieee_inexact 0
		.amdhsa_exception_int_div_zero 0
	.end_amdhsa_kernel
	.text
.Lfunc_end0:
	.size	fft_rtc_fwd_len1694_factors_11_2_11_7_wgs_154_tpt_154_halfLds_half_ip_CI_sbrr_dirReg, .Lfunc_end0-fft_rtc_fwd_len1694_factors_11_2_11_7_wgs_154_tpt_154_halfLds_half_ip_CI_sbrr_dirReg
                                        ; -- End function
	.section	.AMDGPU.csdata,"",@progbits
; Kernel info:
; codeLenInByte = 11308
; NumSgprs: 37
; NumVgprs: 72
; ScratchSize: 0
; MemoryBound: 0
; FloatMode: 240
; IeeeMode: 1
; LDSByteSize: 0 bytes/workgroup (compile time only)
; SGPRBlocks: 4
; VGPRBlocks: 8
; NumSGPRsForWavesPerEU: 37
; NumVGPRsForWavesPerEU: 72
; Occupancy: 15
; WaveLimiterHint : 1
; COMPUTE_PGM_RSRC2:SCRATCH_EN: 0
; COMPUTE_PGM_RSRC2:USER_SGPR: 2
; COMPUTE_PGM_RSRC2:TRAP_HANDLER: 0
; COMPUTE_PGM_RSRC2:TGID_X_EN: 1
; COMPUTE_PGM_RSRC2:TGID_Y_EN: 0
; COMPUTE_PGM_RSRC2:TGID_Z_EN: 0
; COMPUTE_PGM_RSRC2:TIDIG_COMP_CNT: 0
	.text
	.p2alignl 7, 3214868480
	.fill 96, 4, 3214868480
	.type	__hip_cuid_126b5d1388a82cf1,@object ; @__hip_cuid_126b5d1388a82cf1
	.section	.bss,"aw",@nobits
	.globl	__hip_cuid_126b5d1388a82cf1
__hip_cuid_126b5d1388a82cf1:
	.byte	0                               ; 0x0
	.size	__hip_cuid_126b5d1388a82cf1, 1

	.ident	"AMD clang version 19.0.0git (https://github.com/RadeonOpenCompute/llvm-project roc-6.4.0 25133 c7fe45cf4b819c5991fe208aaa96edf142730f1d)"
	.section	".note.GNU-stack","",@progbits
	.addrsig
	.addrsig_sym __hip_cuid_126b5d1388a82cf1
	.amdgpu_metadata
---
amdhsa.kernels:
  - .args:
      - .actual_access:  read_only
        .address_space:  global
        .offset:         0
        .size:           8
        .value_kind:     global_buffer
      - .offset:         8
        .size:           8
        .value_kind:     by_value
      - .actual_access:  read_only
        .address_space:  global
        .offset:         16
        .size:           8
        .value_kind:     global_buffer
      - .actual_access:  read_only
        .address_space:  global
        .offset:         24
        .size:           8
        .value_kind:     global_buffer
      - .offset:         32
        .size:           8
        .value_kind:     by_value
      - .actual_access:  read_only
        .address_space:  global
        .offset:         40
        .size:           8
        .value_kind:     global_buffer
      - .actual_access:  read_only
        .address_space:  global
        .offset:         48
        .size:           8
        .value_kind:     global_buffer
      - .offset:         56
        .size:           4
        .value_kind:     by_value
      - .actual_access:  read_only
        .address_space:  global
        .offset:         64
        .size:           8
        .value_kind:     global_buffer
      - .actual_access:  read_only
        .address_space:  global
        .offset:         72
        .size:           8
        .value_kind:     global_buffer
      - .address_space:  global
        .offset:         80
        .size:           8
        .value_kind:     global_buffer
    .group_segment_fixed_size: 0
    .kernarg_segment_align: 8
    .kernarg_segment_size: 88
    .language:       OpenCL C
    .language_version:
      - 2
      - 0
    .max_flat_workgroup_size: 154
    .name:           fft_rtc_fwd_len1694_factors_11_2_11_7_wgs_154_tpt_154_halfLds_half_ip_CI_sbrr_dirReg
    .private_segment_fixed_size: 0
    .sgpr_count:     37
    .sgpr_spill_count: 0
    .symbol:         fft_rtc_fwd_len1694_factors_11_2_11_7_wgs_154_tpt_154_halfLds_half_ip_CI_sbrr_dirReg.kd
    .uniform_work_group_size: 1
    .uses_dynamic_stack: false
    .vgpr_count:     72
    .vgpr_spill_count: 0
    .wavefront_size: 32
    .workgroup_processor_mode: 1
amdhsa.target:   amdgcn-amd-amdhsa--gfx1201
amdhsa.version:
  - 1
  - 2
...

	.end_amdgpu_metadata
